;; amdgpu-corpus repo=ROCm/rocFFT kind=compiled arch=gfx1030 opt=O3
	.text
	.amdgcn_target "amdgcn-amd-amdhsa--gfx1030"
	.amdhsa_code_object_version 6
	.protected	fft_rtc_fwd_len714_factors_3_17_7_2_wgs_51_tpt_51_halfLds_half_ip_CI_sbrr_dirReg ; -- Begin function fft_rtc_fwd_len714_factors_3_17_7_2_wgs_51_tpt_51_halfLds_half_ip_CI_sbrr_dirReg
	.globl	fft_rtc_fwd_len714_factors_3_17_7_2_wgs_51_tpt_51_halfLds_half_ip_CI_sbrr_dirReg
	.p2align	8
	.type	fft_rtc_fwd_len714_factors_3_17_7_2_wgs_51_tpt_51_halfLds_half_ip_CI_sbrr_dirReg,@function
fft_rtc_fwd_len714_factors_3_17_7_2_wgs_51_tpt_51_halfLds_half_ip_CI_sbrr_dirReg: ; @fft_rtc_fwd_len714_factors_3_17_7_2_wgs_51_tpt_51_halfLds_half_ip_CI_sbrr_dirReg
; %bb.0:
	s_clause 0x2
	s_load_dwordx2 s[14:15], s[4:5], 0x18
	s_load_dwordx4 s[8:11], s[4:5], 0x0
	s_load_dwordx2 s[12:13], s[4:5], 0x50
	v_mul_u32_u24_e32 v1, 0x506, v0
	v_mov_b32_e32 v3, 0
	v_add_nc_u32_sdwa v5, s6, v1 dst_sel:DWORD dst_unused:UNUSED_PAD src0_sel:DWORD src1_sel:WORD_1
	v_mov_b32_e32 v1, 0
	v_mov_b32_e32 v6, v3
	v_mov_b32_e32 v2, 0
	s_waitcnt lgkmcnt(0)
	s_load_dwordx2 s[2:3], s[14:15], 0x0
	v_cmp_lt_u64_e64 s0, s[10:11], 2
	s_and_b32 vcc_lo, exec_lo, s0
	s_cbranch_vccnz .LBB0_8
; %bb.1:
	s_load_dwordx2 s[0:1], s[4:5], 0x10
	v_mov_b32_e32 v1, 0
	s_add_u32 s6, s14, 8
	v_mov_b32_e32 v2, 0
	s_addc_u32 s7, s15, 0
	s_mov_b64 s[18:19], 1
	s_waitcnt lgkmcnt(0)
	s_add_u32 s16, s0, 8
	s_addc_u32 s17, s1, 0
.LBB0_2:                                ; =>This Inner Loop Header: Depth=1
	s_load_dwordx2 s[20:21], s[16:17], 0x0
                                        ; implicit-def: $vgpr7_vgpr8
	s_mov_b32 s0, exec_lo
	s_waitcnt lgkmcnt(0)
	v_or_b32_e32 v4, s21, v6
	v_cmpx_ne_u64_e32 0, v[3:4]
	s_xor_b32 s1, exec_lo, s0
	s_cbranch_execz .LBB0_4
; %bb.3:                                ;   in Loop: Header=BB0_2 Depth=1
	v_cvt_f32_u32_e32 v4, s20
	v_cvt_f32_u32_e32 v7, s21
	s_sub_u32 s0, 0, s20
	s_subb_u32 s22, 0, s21
	v_fmac_f32_e32 v4, 0x4f800000, v7
	v_rcp_f32_e32 v4, v4
	v_mul_f32_e32 v4, 0x5f7ffffc, v4
	v_mul_f32_e32 v7, 0x2f800000, v4
	v_trunc_f32_e32 v7, v7
	v_fmac_f32_e32 v4, 0xcf800000, v7
	v_cvt_u32_f32_e32 v7, v7
	v_cvt_u32_f32_e32 v4, v4
	v_mul_lo_u32 v8, s0, v7
	v_mul_hi_u32 v9, s0, v4
	v_mul_lo_u32 v10, s22, v4
	v_add_nc_u32_e32 v8, v9, v8
	v_mul_lo_u32 v9, s0, v4
	v_add_nc_u32_e32 v8, v8, v10
	v_mul_hi_u32 v10, v4, v9
	v_mul_lo_u32 v11, v4, v8
	v_mul_hi_u32 v12, v4, v8
	v_mul_hi_u32 v13, v7, v9
	v_mul_lo_u32 v9, v7, v9
	v_mul_hi_u32 v14, v7, v8
	v_mul_lo_u32 v8, v7, v8
	v_add_co_u32 v10, vcc_lo, v10, v11
	v_add_co_ci_u32_e32 v11, vcc_lo, 0, v12, vcc_lo
	v_add_co_u32 v9, vcc_lo, v10, v9
	v_add_co_ci_u32_e32 v9, vcc_lo, v11, v13, vcc_lo
	v_add_co_ci_u32_e32 v10, vcc_lo, 0, v14, vcc_lo
	v_add_co_u32 v8, vcc_lo, v9, v8
	v_add_co_ci_u32_e32 v9, vcc_lo, 0, v10, vcc_lo
	v_add_co_u32 v4, vcc_lo, v4, v8
	v_add_co_ci_u32_e32 v7, vcc_lo, v7, v9, vcc_lo
	v_mul_hi_u32 v8, s0, v4
	v_mul_lo_u32 v10, s22, v4
	v_mul_lo_u32 v9, s0, v7
	v_add_nc_u32_e32 v8, v8, v9
	v_mul_lo_u32 v9, s0, v4
	v_add_nc_u32_e32 v8, v8, v10
	v_mul_hi_u32 v10, v4, v9
	v_mul_lo_u32 v11, v4, v8
	v_mul_hi_u32 v12, v4, v8
	v_mul_hi_u32 v13, v7, v9
	v_mul_lo_u32 v9, v7, v9
	v_mul_hi_u32 v14, v7, v8
	v_mul_lo_u32 v8, v7, v8
	v_add_co_u32 v10, vcc_lo, v10, v11
	v_add_co_ci_u32_e32 v11, vcc_lo, 0, v12, vcc_lo
	v_add_co_u32 v9, vcc_lo, v10, v9
	v_add_co_ci_u32_e32 v9, vcc_lo, v11, v13, vcc_lo
	v_add_co_ci_u32_e32 v10, vcc_lo, 0, v14, vcc_lo
	v_add_co_u32 v8, vcc_lo, v9, v8
	v_add_co_ci_u32_e32 v9, vcc_lo, 0, v10, vcc_lo
	v_add_co_u32 v4, vcc_lo, v4, v8
	v_add_co_ci_u32_e32 v11, vcc_lo, v7, v9, vcc_lo
	v_mul_hi_u32 v13, v5, v4
	v_mad_u64_u32 v[9:10], null, v6, v4, 0
	v_mad_u64_u32 v[7:8], null, v5, v11, 0
	;; [unrolled: 1-line block ×3, first 2 shown]
	v_add_co_u32 v4, vcc_lo, v13, v7
	v_add_co_ci_u32_e32 v7, vcc_lo, 0, v8, vcc_lo
	v_add_co_u32 v4, vcc_lo, v4, v9
	v_add_co_ci_u32_e32 v4, vcc_lo, v7, v10, vcc_lo
	v_add_co_ci_u32_e32 v7, vcc_lo, 0, v12, vcc_lo
	v_add_co_u32 v4, vcc_lo, v4, v11
	v_add_co_ci_u32_e32 v9, vcc_lo, 0, v7, vcc_lo
	v_mul_lo_u32 v10, s21, v4
	v_mad_u64_u32 v[7:8], null, s20, v4, 0
	v_mul_lo_u32 v11, s20, v9
	v_sub_co_u32 v7, vcc_lo, v5, v7
	v_add3_u32 v8, v8, v11, v10
	v_sub_nc_u32_e32 v10, v6, v8
	v_subrev_co_ci_u32_e64 v10, s0, s21, v10, vcc_lo
	v_add_co_u32 v11, s0, v4, 2
	v_add_co_ci_u32_e64 v12, s0, 0, v9, s0
	v_sub_co_u32 v13, s0, v7, s20
	v_sub_co_ci_u32_e32 v8, vcc_lo, v6, v8, vcc_lo
	v_subrev_co_ci_u32_e64 v10, s0, 0, v10, s0
	v_cmp_le_u32_e32 vcc_lo, s20, v13
	v_cmp_eq_u32_e64 s0, s21, v8
	v_cndmask_b32_e64 v13, 0, -1, vcc_lo
	v_cmp_le_u32_e32 vcc_lo, s21, v10
	v_cndmask_b32_e64 v14, 0, -1, vcc_lo
	v_cmp_le_u32_e32 vcc_lo, s20, v7
	;; [unrolled: 2-line block ×3, first 2 shown]
	v_cndmask_b32_e64 v15, 0, -1, vcc_lo
	v_cmp_eq_u32_e32 vcc_lo, s21, v10
	v_cndmask_b32_e64 v7, v15, v7, s0
	v_cndmask_b32_e32 v10, v14, v13, vcc_lo
	v_add_co_u32 v13, vcc_lo, v4, 1
	v_add_co_ci_u32_e32 v14, vcc_lo, 0, v9, vcc_lo
	v_cmp_ne_u32_e32 vcc_lo, 0, v10
	v_cndmask_b32_e32 v8, v14, v12, vcc_lo
	v_cndmask_b32_e32 v10, v13, v11, vcc_lo
	v_cmp_ne_u32_e32 vcc_lo, 0, v7
	v_cndmask_b32_e32 v8, v9, v8, vcc_lo
	v_cndmask_b32_e32 v7, v4, v10, vcc_lo
.LBB0_4:                                ;   in Loop: Header=BB0_2 Depth=1
	s_andn2_saveexec_b32 s0, s1
	s_cbranch_execz .LBB0_6
; %bb.5:                                ;   in Loop: Header=BB0_2 Depth=1
	v_cvt_f32_u32_e32 v4, s20
	s_sub_i32 s1, 0, s20
	v_rcp_iflag_f32_e32 v4, v4
	v_mul_f32_e32 v4, 0x4f7ffffe, v4
	v_cvt_u32_f32_e32 v4, v4
	v_mul_lo_u32 v7, s1, v4
	v_mul_hi_u32 v7, v4, v7
	v_add_nc_u32_e32 v4, v4, v7
	v_mul_hi_u32 v4, v5, v4
	v_mul_lo_u32 v7, v4, s20
	v_add_nc_u32_e32 v8, 1, v4
	v_sub_nc_u32_e32 v7, v5, v7
	v_subrev_nc_u32_e32 v9, s20, v7
	v_cmp_le_u32_e32 vcc_lo, s20, v7
	v_cndmask_b32_e32 v7, v7, v9, vcc_lo
	v_cndmask_b32_e32 v4, v4, v8, vcc_lo
	v_cmp_le_u32_e32 vcc_lo, s20, v7
	v_add_nc_u32_e32 v8, 1, v4
	v_cndmask_b32_e32 v7, v4, v8, vcc_lo
	v_mov_b32_e32 v8, v3
.LBB0_6:                                ;   in Loop: Header=BB0_2 Depth=1
	s_or_b32 exec_lo, exec_lo, s0
	s_load_dwordx2 s[0:1], s[6:7], 0x0
	v_mul_lo_u32 v4, v8, s20
	v_mul_lo_u32 v11, v7, s21
	v_mad_u64_u32 v[9:10], null, v7, s20, 0
	s_add_u32 s18, s18, 1
	s_addc_u32 s19, s19, 0
	s_add_u32 s6, s6, 8
	s_addc_u32 s7, s7, 0
	;; [unrolled: 2-line block ×3, first 2 shown]
	v_add3_u32 v4, v10, v11, v4
	v_sub_co_u32 v5, vcc_lo, v5, v9
	v_sub_co_ci_u32_e32 v4, vcc_lo, v6, v4, vcc_lo
	s_waitcnt lgkmcnt(0)
	v_mul_lo_u32 v6, s1, v5
	v_mul_lo_u32 v4, s0, v4
	v_mad_u64_u32 v[1:2], null, s0, v5, v[1:2]
	v_cmp_ge_u64_e64 s0, s[18:19], s[10:11]
	s_and_b32 vcc_lo, exec_lo, s0
	v_add3_u32 v2, v6, v2, v4
	s_cbranch_vccnz .LBB0_9
; %bb.7:                                ;   in Loop: Header=BB0_2 Depth=1
	v_mov_b32_e32 v5, v7
	v_mov_b32_e32 v6, v8
	s_branch .LBB0_2
.LBB0_8:
	v_mov_b32_e32 v8, v6
	v_mov_b32_e32 v7, v5
.LBB0_9:
	s_lshl_b64 s[0:1], s[10:11], 3
	v_mul_hi_u32 v3, 0x5050506, v0
	s_add_u32 s0, s14, s0
	s_addc_u32 s1, s15, s1
	s_load_dwordx2 s[4:5], s[4:5], 0x20
	s_load_dwordx2 s[0:1], s[0:1], 0x0
                                        ; implicit-def: $vgpr6
	v_mul_u32_u24_e32 v3, 51, v3
	v_sub_nc_u32_e32 v0, v0, v3
	v_add_nc_u32_e32 v11, 51, v0
	v_add_nc_u32_e32 v10, 0x66, v0
	;; [unrolled: 1-line block ×3, first 2 shown]
	s_waitcnt lgkmcnt(0)
	v_cmp_gt_u64_e32 vcc_lo, s[4:5], v[7:8]
	v_mul_lo_u32 v3, s0, v8
	v_mul_lo_u32 v4, s1, v7
	v_mad_u64_u32 v[1:2], null, s0, v7, v[1:2]
	v_cmp_le_u64_e64 s0, s[4:5], v[7:8]
                                        ; implicit-def: $vgpr8
	v_add3_u32 v2, v4, v2, v3
                                        ; implicit-def: $vgpr4
	s_and_saveexec_b32 s1, s0
	s_xor_b32 s0, exec_lo, s1
; %bb.10:
	v_add_nc_u32_e32 v4, 51, v0
	v_add_nc_u32_e32 v6, 0x66, v0
	;; [unrolled: 1-line block ×3, first 2 shown]
; %bb.11:
	s_or_saveexec_b32 s1, s0
	v_lshlrev_b64 v[2:3], 2, v[1:2]
                                        ; implicit-def: $vgpr20
                                        ; implicit-def: $vgpr14
                                        ; implicit-def: $vgpr42
                                        ; implicit-def: $vgpr17
                                        ; implicit-def: $vgpr23
                                        ; implicit-def: $vgpr22
                                        ; implicit-def: $vgpr21
                                        ; implicit-def: $vgpr15
                                        ; implicit-def: $vgpr43
                                        ; implicit-def: $vgpr7
                                        ; implicit-def: $vgpr37
                                        ; implicit-def: $vgpr9
                                        ; implicit-def: $vgpr31
                                        ; implicit-def: $vgpr19
                                        ; implicit-def: $vgpr41
                                        ; implicit-def: $vgpr13
                                        ; implicit-def: $vgpr39
                                        ; implicit-def: $vgpr16
                                        ; implicit-def: $vgpr35
                                        ; implicit-def: $vgpr27
                                        ; implicit-def: $vgpr34
                                        ; implicit-def: $vgpr1
                                        ; implicit-def: $vgpr32
                                        ; implicit-def: $vgpr5
                                        ; implicit-def: $vgpr38
                                        ; implicit-def: $vgpr36
                                        ; implicit-def: $vgpr30
                                        ; implicit-def: $vgpr24
                                        ; implicit-def: $vgpr26
                                        ; implicit-def: $vgpr28
	s_xor_b32 exec_lo, exec_lo, s1
	s_cbranch_execz .LBB0_15
; %bb.12:
	v_mad_u64_u32 v[7:8], null, s2, v0, 0
	v_add_nc_u32_e32 v6, 0xee, v0
	v_add_nc_u32_e32 v9, 0x1dc, v0
	v_mad_u64_u32 v[17:18], null, s2, v11, 0
	v_mad_u64_u32 v[33:34], null, s2, v12, 0
	;; [unrolled: 1-line block ×3, first 2 shown]
	v_mov_b32_e32 v1, v8
	v_mad_u64_u32 v[15:16], null, s2, v9, 0
	s_mov_b32 s4, exec_lo
	v_mad_u64_u32 v[4:5], null, s3, v0, v[1:2]
	v_mov_b32_e32 v1, v14
	v_mad_u64_u32 v[5:6], null, s3, v6, v[1:2]
	v_mov_b32_e32 v1, v16
	v_mov_b32_e32 v8, v4
	v_add_co_u32 v4, s0, s12, v2
	v_add_co_ci_u32_e64 v6, s0, s13, v3, s0
	v_mad_u64_u32 v[19:20], null, s3, v9, v[1:2]
	v_mov_b32_e32 v14, v5
	v_add_nc_u32_e32 v5, 0x121, v0
	v_lshlrev_b64 v[7:8], 2, v[7:8]
	v_mov_b32_e32 v1, v18
	v_add_nc_u32_e32 v9, 0x20f, v0
	v_lshlrev_b64 v[13:14], 2, v[13:14]
	v_mov_b32_e32 v16, v19
	v_mad_u64_u32 v[19:20], null, s2, v5, 0
	v_add_co_u32 v7, s0, v4, v7
	v_add_co_ci_u32_e64 v8, s0, v6, v8, s0
	v_mad_u64_u32 v[21:22], null, s3, v11, v[1:2]
	v_add_co_u32 v22, s0, v4, v13
	v_add_co_ci_u32_e64 v23, s0, v6, v14, s0
	v_mov_b32_e32 v1, v20
	v_lshlrev_b64 v[13:14], 2, v[15:16]
	v_mad_u64_u32 v[15:16], null, s2, v9, 0
	v_mov_b32_e32 v18, v21
	v_mad_u64_u32 v[24:25], null, s3, v5, v[1:2]
	v_add_co_u32 v25, s0, v4, v13
	v_add_co_ci_u32_e64 v26, s0, v6, v14, s0
	v_mov_b32_e32 v1, v16
	v_lshlrev_b64 v[13:14], 2, v[17:18]
	v_mad_u64_u32 v[17:18], null, s2, v10, 0
	v_mov_b32_e32 v20, v24
	v_mad_u64_u32 v[27:28], null, s3, v9, v[1:2]
	v_add_co_u32 v28, s0, v4, v13
	v_add_nc_u32_e32 v5, 0x154, v0
	v_add_co_ci_u32_e64 v29, s0, v6, v14, s0
	v_lshlrev_b64 v[13:14], 2, v[19:20]
	v_mov_b32_e32 v1, v18
	v_mov_b32_e32 v16, v27
	v_mad_u64_u32 v[19:20], null, s2, v5, 0
	v_add_nc_u32_e32 v9, 0x242, v0
	v_mad_u64_u32 v[30:31], null, s3, v10, v[1:2]
	v_add_co_u32 v31, s0, v4, v13
	v_add_co_ci_u32_e64 v32, s0, v6, v14, s0
	v_lshlrev_b64 v[13:14], 2, v[15:16]
	v_mad_u64_u32 v[15:16], null, s2, v9, 0
	v_mov_b32_e32 v1, v20
	v_mov_b32_e32 v18, v30
                                        ; implicit-def: $vgpr24
                                        ; implicit-def: $vgpr30
	v_add_co_u32 v35, s0, v4, v13
	v_mad_u64_u32 v[20:21], null, s3, v5, v[1:2]
	v_mov_b32_e32 v1, v16
	v_add_nc_u32_e32 v5, 0x187, v0
	v_add_co_ci_u32_e64 v36, s0, v6, v14, s0
	v_lshlrev_b64 v[13:14], 2, v[17:18]
	v_mad_u64_u32 v[16:17], null, s3, v9, v[1:2]
	v_mov_b32_e32 v1, v34
	v_add_nc_u32_e32 v9, 0x275, v0
	v_mad_u64_u32 v[17:18], null, s2, v5, 0
	v_add_co_u32 v40, s0, v4, v13
	v_mad_u64_u32 v[37:38], null, s3, v12, v[1:2]
	v_mad_u64_u32 v[38:39], null, s2, v9, 0
	v_mov_b32_e32 v1, v18
	v_add_co_ci_u32_e64 v41, s0, v6, v14, s0
	v_lshlrev_b64 v[13:14], 2, v[19:20]
	v_mov_b32_e32 v34, v37
	v_mad_u64_u32 v[18:19], null, s3, v5, v[1:2]
	v_mov_b32_e32 v1, v39
	v_add_co_u32 v20, s0, v4, v13
	v_add_co_ci_u32_e64 v21, s0, v6, v14, s0
	v_lshlrev_b64 v[13:14], 2, v[15:16]
	v_mad_u64_u32 v[15:16], null, s3, v9, v[1:2]
	v_lshlrev_b64 v[33:34], 2, v[33:34]
	v_add_co_u32 v42, s0, v4, v13
	v_add_co_ci_u32_e64 v43, s0, v6, v14, s0
	v_mov_b32_e32 v39, v15
	v_lshlrev_b64 v[13:14], 2, v[17:18]
	v_add_co_u32 v33, s0, v4, v33
	v_add_co_ci_u32_e64 v34, s0, v6, v34, s0
	v_lshlrev_b64 v[15:16], 2, v[38:39]
	v_add_co_u32 v37, s0, v4, v13
	v_add_co_ci_u32_e64 v38, s0, v6, v14, s0
	v_add_co_u32 v44, s0, v4, v15
	v_add_co_ci_u32_e64 v45, s0, v6, v16, s0
	s_clause 0xb
	global_load_dword v14, v[7:8], off
	global_load_dword v17, v[22:23], off
	;; [unrolled: 1-line block ×12, first 2 shown]
                                        ; implicit-def: $vgpr28
                                        ; implicit-def: $vgpr26
                                        ; implicit-def: $vgpr36
                                        ; implicit-def: $vgpr38
	v_cmpx_gt_u32_e32 34, v0
	s_cbranch_execz .LBB0_14
; %bb.13:
	v_add_nc_u32_e32 v28, 0xcc, v0
	v_add_nc_u32_e32 v30, 0x1ba, v0
	;; [unrolled: 1-line block ×3, first 2 shown]
	v_mad_u64_u32 v[20:21], null, s2, v28, 0
	v_mad_u64_u32 v[23:24], null, s2, v30, 0
	;; [unrolled: 1-line block ×3, first 2 shown]
	v_mov_b32_e32 v8, v21
	v_mov_b32_e32 v18, v24
	;; [unrolled: 1-line block ×3, first 2 shown]
	s_waitcnt vmcnt(6)
	v_mad_u64_u32 v[28:29], null, s3, v28, v[8:9]
	s_waitcnt vmcnt(5)
	v_mad_u64_u32 v[29:30], null, s3, v30, v[18:19]
	v_mad_u64_u32 v[30:31], null, s3, v31, v[21:22]
	v_mov_b32_e32 v21, v28
	v_mov_b32_e32 v24, v29
	;; [unrolled: 1-line block ×3, first 2 shown]
	v_lshlrev_b64 v[20:21], 2, v[20:21]
	v_lshlrev_b64 v[23:24], 2, v[23:24]
	;; [unrolled: 1-line block ×3, first 2 shown]
	v_add_co_u32 v20, s0, v4, v20
	v_add_co_ci_u32_e64 v21, s0, v6, v21, s0
	v_add_co_u32 v23, s0, v4, v23
	v_add_co_ci_u32_e64 v24, s0, v6, v24, s0
	;; [unrolled: 2-line block ×3, first 2 shown]
	s_clause 0x2
	global_load_dword v36, v[20:21], off
	global_load_dword v24, v[23:24], off
	;; [unrolled: 1-line block ×3, first 2 shown]
	s_waitcnt vmcnt(2)
	v_lshrrev_b32_e32 v38, 16, v36
	s_waitcnt vmcnt(1)
	v_lshrrev_b32_e32 v30, 16, v24
	;; [unrolled: 2-line block ×3, first 2 shown]
.LBB0_14:
	s_or_b32 exec_lo, exec_lo, s4
	s_waitcnt vmcnt(11)
	v_lshrrev_b32_e32 v20, 16, v14
	s_waitcnt vmcnt(10)
	v_lshrrev_b32_e32 v42, 16, v17
	;; [unrolled: 2-line block ×12, first 2 shown]
	v_mov_b32_e32 v8, v12
	v_mov_b32_e32 v6, v10
	;; [unrolled: 1-line block ×3, first 2 shown]
.LBB0_15:
	s_or_b32 exec_lo, exec_lo, s1
	v_add_f16_e32 v18, v17, v22
	v_add_f16_e32 v25, v14, v17
	v_sub_f16_e32 v29, v42, v23
	v_add_f16_e32 v33, v7, v9
	v_add_f16_e32 v40, v15, v7
	v_fmac_f16_e32 v14, -0.5, v18
	v_add_f16_e32 v44, v13, v16
	v_add_f16_e32 v18, v25, v22
	v_fmac_f16_e32 v15, -0.5, v33
	v_sub_f16_e32 v45, v43, v37
	v_fmamk_f16 v25, v29, 0x3aee, v14
	v_fmac_f16_e32 v14, 0xbaee, v29
	v_add_f16_e32 v29, v40, v9
	v_add_f16_e32 v40, v19, v13
	v_fmac_f16_e32 v19, -0.5, v44
	v_sub_f16_e32 v46, v41, v39
	v_fmamk_f16 v33, v45, 0x3aee, v15
	v_fmac_f16_e32 v15, 0xbaee, v45
	v_add_f16_e32 v45, v1, v5
	v_add_f16_e32 v47, v27, v1
	v_fmamk_f16 v44, v46, 0x3aee, v19
	v_fmac_f16_e32 v19, 0xbaee, v46
	v_add_f16_e32 v46, v24, v28
	v_fmac_f16_e32 v27, -0.5, v45
	v_sub_f16_e32 v48, v34, v32
	v_add_f16_e32 v45, v47, v5
	v_add_f16_e32 v47, v36, v24
	v_fmac_f16_e32 v36, -0.5, v46
	v_sub_f16_e32 v49, v30, v26
	v_fmamk_f16 v46, v48, 0x3aee, v27
	v_fmac_f16_e32 v27, 0xbaee, v48
	v_mad_u32_u24 v56, v0, 6, 0
	v_add_f16_e32 v40, v40, v16
	v_fmamk_f16 v48, v49, 0x3aee, v36
	v_fmac_f16_e32 v36, 0xbaee, v49
	v_mad_i32_i24 v49, v4, 6, 0
	v_add_f16_e32 v47, v47, v28
	v_mad_i32_i24 v50, v6, 6, 0
	v_cmp_gt_u32_e64 s1, 34, v0
	ds_write_b16 v56, v18
	ds_write_b16 v56, v25 offset:2
	ds_write_b16 v56, v14 offset:4
	ds_write_b16 v49, v29
	ds_write_b16 v49, v33 offset:2
	ds_write_b16 v49, v15 offset:4
	v_mad_i32_i24 v49, v8, 6, 0
	ds_write_b16 v50, v40
	ds_write_b16 v50, v44 offset:2
	ds_write_b16 v50, v19 offset:4
	ds_write_b16 v49, v45
	ds_write_b16 v49, v46 offset:2
	ds_write_b16 v49, v27 offset:4
	s_and_saveexec_b32 s0, s1
	s_cbranch_execz .LBB0_17
; %bb.16:
	ds_write_b16 v56, v47 offset:1224
	ds_write_b16 v56, v48 offset:1226
	;; [unrolled: 1-line block ×3, first 2 shown]
.LBB0_17:
	s_or_b32 exec_lo, exec_lo, s0
	v_mul_i32_i24_e32 v63, 6, v4
	v_mul_i32_i24_e32 v59, 6, v6
	;; [unrolled: 1-line block ×3, first 2 shown]
	v_cmp_gt_u32_e64 s0, 42, v0
	s_waitcnt lgkmcnt(0)
	s_barrier
	buffer_gl0_inv
                                        ; implicit-def: $vgpr49
                                        ; implicit-def: $vgpr50
	s_and_saveexec_b32 s4, s0
	s_cbranch_execz .LBB0_19
; %bb.18:
	v_lshlrev_b32_e32 v14, 2, v0
	v_sub_nc_u32_e32 v49, v56, v14
	ds_read_u16 v18, v49
	ds_read_u16 v25, v49 offset:84
	ds_read_u16 v14, v49 offset:168
	;; [unrolled: 1-line block ×16, first 2 shown]
.LBB0_19:
	s_or_b32 exec_lo, exec_lo, s4
	v_sub_f16_e32 v17, v17, v22
	v_add_f16_e32 v22, v43, v37
	v_add_f16_e32 v43, v21, v43
	;; [unrolled: 1-line block ×3, first 2 shown]
	v_sub_f16_e32 v7, v7, v9
	v_add_f16_e32 v9, v31, v41
	v_fmac_f16_e32 v21, -0.5, v22
	v_add_f16_e32 v51, v42, v23
	v_fmac_f16_e32 v31, -0.5, v53
	v_sub_f16_e32 v13, v13, v16
	v_add_f16_e32 v53, v9, v39
	v_fmamk_f16 v54, v7, 0xbaee, v21
	v_fmac_f16_e32 v21, 0x3aee, v7
	v_add_f16_e32 v7, v34, v32
	v_add_f16_e32 v9, v30, v26
	;; [unrolled: 1-line block ×3, first 2 shown]
	v_fmac_f16_e32 v20, -0.5, v51
	v_fmamk_f16 v55, v13, 0xbaee, v31
	v_fmac_f16_e32 v31, 0x3aee, v13
	v_add_f16_e32 v13, v35, v34
	v_fmac_f16_e32 v35, -0.5, v7
	v_sub_f16_e32 v1, v1, v5
	v_add_f16_e32 v5, v38, v30
	v_fmac_f16_e32 v38, -0.5, v9
	v_sub_f16_e32 v7, v24, v28
	v_add_f16_e32 v23, v42, v23
	v_fmamk_f16 v51, v17, 0xbaee, v20
	v_fmac_f16_e32 v20, 0x3aee, v17
	v_add_f16_e32 v52, v43, v37
	v_add_f16_e32 v58, v13, v32
	v_fmamk_f16 v60, v1, 0xbaee, v35
	v_fmac_f16_e32 v35, 0x3aee, v1
	v_add_f16_e32 v61, v5, v26
	v_fmamk_f16 v62, v7, 0xbaee, v38
	v_fmac_f16_e32 v38, 0x3aee, v7
	v_add_nc_u32_e32 v1, 0, v63
	v_add_nc_u32_e32 v5, 0, v59
	;; [unrolled: 1-line block ×3, first 2 shown]
	s_waitcnt lgkmcnt(0)
	s_barrier
	buffer_gl0_inv
	ds_write_b16 v56, v23
	ds_write_b16 v56, v51 offset:2
	ds_write_b16 v56, v20 offset:4
	ds_write_b16 v1, v52
	ds_write_b16 v1, v54 offset:2
	ds_write_b16 v1, v21 offset:4
	;; [unrolled: 3-line block ×4, first 2 shown]
	s_and_saveexec_b32 s4, s1
	s_cbranch_execz .LBB0_21
; %bb.20:
	ds_write_b16 v56, v61 offset:1224
	ds_write_b16 v56, v62 offset:1226
	;; [unrolled: 1-line block ×3, first 2 shown]
.LBB0_21:
	s_or_b32 exec_lo, exec_lo, s4
	v_lshl_add_u32 v13, v0, 1, 0
	s_waitcnt lgkmcnt(0)
	s_barrier
	buffer_gl0_inv
                                        ; implicit-def: $vgpr63
                                        ; implicit-def: $vgpr64
	s_and_saveexec_b32 s1, s0
	s_cbranch_execz .LBB0_23
; %bb.22:
	ds_read_u16 v23, v13
	ds_read_u16 v51, v13 offset:84
	ds_read_u16 v20, v13 offset:168
	;; [unrolled: 1-line block ×16, first 2 shown]
.LBB0_23:
	s_or_b32 exec_lo, exec_lo, s1
	v_and_b32_e32 v1, 0xff, v0
	v_mov_b32_e32 v7, 6
	v_mul_lo_u16 v1, 0xab, v1
	v_lshrrev_b16 v1, 9, v1
	v_mul_lo_u16 v5, v1, 3
	v_sub_nc_u16 v5, v0, v5
	v_lshlrev_b32_sdwa v7, v7, v5 dst_sel:DWORD dst_unused:UNUSED_PAD src0_sel:DWORD src1_sel:BYTE_0
	s_clause 0x3
	global_load_dwordx4 v[65:68], v7, s[8:9]
	global_load_dwordx4 v[69:72], v7, s[8:9] offset:16
	global_load_dwordx4 v[73:76], v7, s[8:9] offset:32
	;; [unrolled: 1-line block ×3, first 2 shown]
	s_waitcnt vmcnt(0) lgkmcnt(0)
	s_barrier
	buffer_gl0_inv
	v_mul_f16_sdwa v39, v51, v65 dst_sel:DWORD dst_unused:UNUSED_PAD src0_sel:DWORD src1_sel:WORD_1
	v_mul_f16_sdwa v56, v25, v65 dst_sel:DWORD dst_unused:UNUSED_PAD src0_sel:DWORD src1_sel:WORD_1
	v_mul_f16_sdwa v57, v20, v66 dst_sel:DWORD dst_unused:UNUSED_PAD src0_sel:DWORD src1_sel:WORD_1
	v_mul_f16_sdwa v43, v14, v66 dst_sel:DWORD dst_unused:UNUSED_PAD src0_sel:DWORD src1_sel:WORD_1
	v_mul_f16_sdwa v81, v52, v67 dst_sel:DWORD dst_unused:UNUSED_PAD src0_sel:DWORD src1_sel:WORD_1
	v_mul_f16_sdwa v34, v29, v67 dst_sel:DWORD dst_unused:UNUSED_PAD src0_sel:DWORD src1_sel:WORD_1
	v_mul_f16_sdwa v82, v54, v68 dst_sel:DWORD dst_unused:UNUSED_PAD src0_sel:DWORD src1_sel:WORD_1
	v_mul_f16_sdwa v30, v33, v68 dst_sel:DWORD dst_unused:UNUSED_PAD src0_sel:DWORD src1_sel:WORD_1
	v_mul_f16_sdwa v83, v21, v69 dst_sel:DWORD dst_unused:UNUSED_PAD src0_sel:DWORD src1_sel:WORD_1
	v_mul_f16_sdwa v26, v15, v69 dst_sel:DWORD dst_unused:UNUSED_PAD src0_sel:DWORD src1_sel:WORD_1
	v_mul_f16_sdwa v84, v53, v70 dst_sel:DWORD dst_unused:UNUSED_PAD src0_sel:DWORD src1_sel:WORD_1
	v_mul_f16_sdwa v22, v40, v70 dst_sel:DWORD dst_unused:UNUSED_PAD src0_sel:DWORD src1_sel:WORD_1
	v_mul_f16_sdwa v85, v55, v71 dst_sel:DWORD dst_unused:UNUSED_PAD src0_sel:DWORD src1_sel:WORD_1
	v_mul_f16_sdwa v16, v44, v71 dst_sel:DWORD dst_unused:UNUSED_PAD src0_sel:DWORD src1_sel:WORD_1
	v_mul_f16_sdwa v86, v31, v72 dst_sel:DWORD dst_unused:UNUSED_PAD src0_sel:DWORD src1_sel:WORD_1
	v_mul_f16_sdwa v7, v19, v72 dst_sel:DWORD dst_unused:UNUSED_PAD src0_sel:DWORD src1_sel:WORD_1
	v_mul_f16_sdwa v87, v58, v73 dst_sel:DWORD dst_unused:UNUSED_PAD src0_sel:DWORD src1_sel:WORD_1
	v_mul_f16_sdwa v9, v45, v73 dst_sel:DWORD dst_unused:UNUSED_PAD src0_sel:DWORD src1_sel:WORD_1
	v_mul_f16_sdwa v88, v60, v74 dst_sel:DWORD dst_unused:UNUSED_PAD src0_sel:DWORD src1_sel:WORD_1
	v_mul_f16_sdwa v17, v46, v74 dst_sel:DWORD dst_unused:UNUSED_PAD src0_sel:DWORD src1_sel:WORD_1
	v_mul_f16_sdwa v89, v35, v75 dst_sel:DWORD dst_unused:UNUSED_PAD src0_sel:DWORD src1_sel:WORD_1
	v_mul_f16_sdwa v24, v27, v75 dst_sel:DWORD dst_unused:UNUSED_PAD src0_sel:DWORD src1_sel:WORD_1
	v_mul_f16_sdwa v90, v61, v76 dst_sel:DWORD dst_unused:UNUSED_PAD src0_sel:DWORD src1_sel:WORD_1
	v_mul_f16_sdwa v28, v47, v76 dst_sel:DWORD dst_unused:UNUSED_PAD src0_sel:DWORD src1_sel:WORD_1
	v_mul_f16_sdwa v91, v62, v77 dst_sel:DWORD dst_unused:UNUSED_PAD src0_sel:DWORD src1_sel:WORD_1
	v_mul_f16_sdwa v32, v48, v77 dst_sel:DWORD dst_unused:UNUSED_PAD src0_sel:DWORD src1_sel:WORD_1
	v_mul_f16_sdwa v92, v38, v78 dst_sel:DWORD dst_unused:UNUSED_PAD src0_sel:DWORD src1_sel:WORD_1
	v_mul_f16_sdwa v37, v36, v78 dst_sel:DWORD dst_unused:UNUSED_PAD src0_sel:DWORD src1_sel:WORD_1
	v_mul_f16_sdwa v93, v64, v79 dst_sel:DWORD dst_unused:UNUSED_PAD src0_sel:DWORD src1_sel:WORD_1
	v_mul_f16_sdwa v41, v50, v79 dst_sel:DWORD dst_unused:UNUSED_PAD src0_sel:DWORD src1_sel:WORD_1
	v_mul_f16_sdwa v94, v63, v80 dst_sel:DWORD dst_unused:UNUSED_PAD src0_sel:DWORD src1_sel:WORD_1
	v_mul_f16_sdwa v42, v49, v80 dst_sel:DWORD dst_unused:UNUSED_PAD src0_sel:DWORD src1_sel:WORD_1
	v_fma_f16 v59, v25, v65, -v39
	v_fmac_f16_e32 v56, v51, v65
	v_fma_f16 v57, v14, v66, -v57
	v_fmac_f16_e32 v43, v20, v66
	;; [unrolled: 2-line block ×16, first 2 shown]
	s_and_saveexec_b32 s1, s0
	s_cbranch_execz .LBB0_25
; %bb.24:
	v_add_f16_e32 v19, v18, v59
	v_sub_f16_e32 v61, v56, v42
	v_add_f16_e32 v54, v59, v60
	v_sub_f16_e32 v55, v43, v41
	v_add_f16_e32 v46, v57, v58
	v_add_f16_e32 v19, v19, v57
	v_mul_f16_e32 v63, 0xb1e1, v61
	v_sub_f16_e32 v53, v34, v37
	v_mul_f16_e32 v64, 0x35c8, v55
	v_add_f16_e32 v47, v39, v40
	v_add_f16_e32 v19, v19, v39
	v_fmamk_f16 v75, v54, 0xbbdd, v63
	v_sub_f16_e32 v50, v30, v32
	v_mul_f16_e32 v65, 0xb836, v53
	v_fmamk_f16 v76, v46, 0x3b76, v64
	v_add_f16_e32 v62, v19, v33
	v_add_f16_e32 v75, v18, v75
	;; [unrolled: 1-line block ×3, first 2 shown]
	v_sub_f16_e32 v52, v26, v28
	v_mul_f16_e32 v66, 0x3964, v50
	v_add_f16_e32 v62, v62, v29
	v_fmamk_f16 v77, v47, 0xbacd, v65
	v_fma_f16 v63, v54, 0xbbdd, -v63
	v_add_f16_e32 v75, v76, v75
	v_add_f16_e32 v48, v29, v31
	;; [unrolled: 1-line block ×3, first 2 shown]
	v_sub_f16_e32 v51, v22, v24
	v_mul_f16_e32 v67, 0xba62, v52
	v_fmamk_f16 v78, v38, 0x39e9, v66
	v_fma_f16 v64, v46, 0x3b76, -v64
	v_add_f16_e32 v62, v62, v20
	v_add_f16_e32 v63, v18, v63
	;; [unrolled: 1-line block ×4, first 2 shown]
	v_sub_f16_e32 v49, v16, v17
	v_add_f16_e32 v62, v62, v14
	v_mul_f16_e32 v68, 0x3b29, v51
	v_mul_f16_e32 v71, 0xb836, v61
	v_fmamk_f16 v79, v48, 0xb8d2, v67
	v_fma_f16 v65, v47, 0xbacd, -v65
	v_add_f16_e32 v62, v62, v15
	v_add_f16_e32 v63, v64, v63
	v_fma_f16 v64, v38, 0x39e9, -v66
	v_add_f16_e32 v66, v78, v75
	v_add_f16_e32 v36, v20, v21
	;; [unrolled: 1-line block ×3, first 2 shown]
	v_sub_f16_e32 v45, v7, v9
	v_mul_f16_e32 v69, 0xbbb2, v49
	v_mul_f16_e32 v72, 0x3b29, v55
	v_fmamk_f16 v80, v44, 0x3722, v68
	v_add_f16_e32 v62, v62, v27
	v_add_f16_e32 v63, v65, v63
	v_fma_f16 v65, v44, 0x3722, -v68
	v_add_f16_e32 v66, v79, v66
	v_fmamk_f16 v68, v54, 0xbacd, v71
	v_add_f16_e32 v62, v62, v31
	v_add_f16_e32 v19, v14, v15
	v_mul_f16_e32 v70, 0x3bf7, v45
	v_mul_f16_e32 v73, 0xbbf7, v53
	v_fmamk_f16 v81, v36, 0xb461, v69
	v_add_f16_e32 v62, v62, v35
	v_fma_f16 v67, v48, 0xb8d2, -v67
	v_add_f16_e32 v63, v64, v63
	v_fmamk_f16 v64, v46, 0x3722, v72
	v_add_f16_e32 v66, v80, v66
	v_add_f16_e32 v62, v62, v40
	;; [unrolled: 1-line block ×3, first 2 shown]
	v_mul_f16_e32 v74, 0x3a62, v50
	v_fmamk_f16 v76, v19, 0x2de8, v70
	v_add_f16_e32 v63, v67, v63
	v_add_f16_e32 v62, v62, v58
	v_fmamk_f16 v67, v47, 0x2de8, v73
	v_add_f16_e32 v66, v81, v66
	v_add_f16_e32 v64, v64, v68
	;; [unrolled: 1-line block ×4, first 2 shown]
	v_fma_f16 v68, v36, 0xb461, -v69
	v_add_f16_e32 v62, v76, v66
	v_add_f16_e32 v64, v67, v64
	v_fmamk_f16 v66, v38, 0xb8d2, v74
	v_mul_f16_e32 v67, 0xb5c8, v52
	v_add_f16_e32 v65, v68, v65
	v_fma_f16 v68, v19, 0x2de8, -v70
	v_fma_f16 v69, v54, 0xbacd, -v71
	v_add_f16_e32 v66, v66, v64
	v_fmamk_f16 v70, v48, 0x3b76, v67
	v_mul_f16_e32 v71, 0xb1e1, v51
	v_add_f16_e32 v64, v68, v65
	v_add_f16_e32 v65, v18, v69
	v_fma_f16 v68, v46, 0x3722, -v72
	v_add_f16_e32 v66, v70, v66
	v_fmamk_f16 v69, v44, 0xbbdd, v71
	v_mul_f16_e32 v70, 0xba62, v61
	v_mul_f16_e32 v72, 0x3964, v49
	v_add_f16_e32 v65, v68, v65
	v_fma_f16 v68, v47, 0x2de8, -v73
	v_add_f16_e32 v66, v69, v66
	v_fmamk_f16 v69, v54, 0xb8d2, v70
	v_mul_f16_e32 v73, 0x3bb2, v55
	v_mul_f16_e32 v76, 0xb5c8, v53
	v_add_f16_e32 v65, v68, v65
	v_fma_f16 v68, v38, 0xb8d2, -v74
	v_add_f16_e32 v69, v18, v69
	v_fmamk_f16 v74, v46, 0xb461, v73
	v_fmamk_f16 v75, v36, 0x39e9, v72
	v_fma_f16 v67, v48, 0x3b76, -v67
	v_add_f16_e32 v65, v68, v65
	v_mul_f16_e32 v78, 0xb964, v51
	v_add_f16_e32 v68, v74, v69
	v_fmamk_f16 v69, v47, 0x3b76, v76
	v_mul_f16_e32 v74, 0xb836, v50
	v_add_f16_e32 v66, v75, v66
	v_mul_f16_e32 v75, 0xbbb2, v45
	v_add_f16_e32 v65, v67, v65
	v_fma_f16 v67, v44, 0xbbdd, -v71
	v_add_f16_e32 v68, v69, v68
	v_fmamk_f16 v69, v38, 0xbacd, v74
	v_mul_f16_e32 v71, 0x3bf7, v52
	v_fmamk_f16 v77, v19, 0xb461, v75
	v_add_f16_e32 v67, v67, v65
	v_fma_f16 v72, v36, 0x39e9, -v72
	v_add_f16_e32 v68, v69, v68
	v_fmamk_f16 v69, v48, 0x2de8, v71
	v_add_f16_e32 v65, v77, v66
	v_fma_f16 v66, v54, 0xb8d2, -v70
	v_mul_f16_e32 v70, 0xb1e1, v49
	v_add_f16_e32 v67, v72, v67
	v_add_f16_e32 v68, v69, v68
	v_fmamk_f16 v69, v44, 0x39e9, v78
	v_add_f16_e32 v66, v18, v66
	v_fma_f16 v72, v46, 0xb461, -v73
	v_fma_f16 v73, v19, 0xb461, -v75
	v_mul_f16_e32 v75, 0xbbb2, v61
	v_add_f16_e32 v68, v69, v68
	v_fmamk_f16 v69, v36, 0xbbdd, v70
	v_add_f16_e32 v66, v72, v66
	v_fma_f16 v72, v47, 0x3b76, -v76
	v_add_f16_e32 v67, v73, v67
	v_mul_f16_e32 v73, 0x3836, v55
	v_add_f16_e32 v68, v69, v68
	v_fmamk_f16 v69, v54, 0xb461, v75
	v_add_f16_e32 v66, v72, v66
	v_fma_f16 v72, v38, 0xbacd, -v74
	v_mul_f16_e32 v74, 0x3b29, v45
	v_fmamk_f16 v76, v46, 0xbacd, v73
	v_add_f16_e32 v69, v18, v69
	v_mul_f16_e32 v77, 0x3964, v53
	v_add_f16_e32 v66, v72, v66
	v_fma_f16 v71, v48, 0x2de8, -v71
	v_fmamk_f16 v72, v19, 0x3722, v74
	v_add_f16_e32 v69, v76, v69
	v_fmamk_f16 v76, v47, 0x39e9, v77
	v_mul_f16_e32 v79, 0xbb29, v50
	v_add_f16_e32 v66, v71, v66
	v_fma_f16 v71, v44, 0x39e9, -v78
	v_add_f16_e32 v68, v72, v68
	v_add_f16_e32 v69, v76, v69
	v_fmamk_f16 v72, v38, 0x3722, v79
	v_mul_f16_e32 v76, 0xb1e1, v52
	v_add_f16_e32 v66, v71, v66
	v_fma_f16 v70, v36, 0xbbdd, -v70
	v_fma_f16 v71, v54, 0xb461, -v75
	v_add_f16_e32 v69, v72, v69
	v_fmamk_f16 v72, v48, 0xbbdd, v76
	v_mul_f16_e32 v75, 0x3bf7, v51
	v_add_f16_e32 v66, v70, v66
	v_add_f16_e32 v70, v18, v71
	v_fma_f16 v71, v46, 0xbacd, -v73
	v_add_f16_e32 v69, v72, v69
	v_fmamk_f16 v72, v44, 0x2de8, v75
	v_mul_f16_e32 v73, 0xb5c8, v49
	v_fma_f16 v74, v19, 0x3722, -v74
	v_add_f16_e32 v70, v71, v70
	v_fma_f16 v71, v47, 0x39e9, -v77
	v_add_f16_e32 v69, v72, v69
	v_fmamk_f16 v72, v36, 0x3b76, v73
	v_add_f16_e32 v66, v74, v66
	v_mul_f16_e32 v74, 0xbbf7, v61
	v_add_f16_e32 v70, v71, v70
	v_fma_f16 v71, v38, 0x3722, -v79
	v_add_f16_e32 v69, v72, v69
	v_mul_f16_e32 v72, 0xba62, v45
	v_fmamk_f16 v77, v54, 0x2de8, v74
	v_mul_f16_e32 v78, 0xb1e1, v55
	v_add_f16_e32 v70, v71, v70
	v_fma_f16 v71, v48, 0xbbdd, -v76
	v_fmamk_f16 v76, v19, 0xb8d2, v72
	v_add_f16_e32 v77, v18, v77
	v_fmamk_f16 v79, v46, 0xbbdd, v78
	v_mul_f16_e32 v80, 0x3bb2, v53
	v_add_f16_e32 v70, v71, v70
	v_fma_f16 v71, v44, 0x2de8, -v75
	v_add_f16_e32 v69, v76, v69
	v_add_f16_e32 v75, v79, v77
	v_fmamk_f16 v76, v47, 0xb461, v80
	v_mul_f16_e32 v77, 0x35c8, v50
	v_add_f16_e32 v70, v71, v70
	v_fma_f16 v71, v36, 0x3b76, -v73
	v_fma_f16 v73, v54, 0x2de8, -v74
	v_add_f16_e32 v74, v76, v75
	v_fmamk_f16 v75, v38, 0x3b76, v77
	v_mul_f16_e32 v76, 0xbb29, v52
	v_add_f16_e32 v70, v71, v70
	v_add_f16_e32 v71, v18, v73
	v_fma_f16 v73, v46, 0xbbdd, -v78
	v_add_f16_e32 v74, v75, v74
	v_fmamk_f16 v75, v48, 0x3722, v76
	v_mul_f16_e32 v78, 0xb836, v51
	v_fma_f16 v72, v19, 0xb8d2, -v72
	v_add_f16_e32 v71, v73, v71
	v_fma_f16 v73, v47, 0xb461, -v80
	v_add_f16_e32 v74, v75, v74
	v_fmamk_f16 v75, v44, 0xbacd, v78
	v_mul_f16_e32 v79, 0xbb29, v61
	v_add_f16_e32 v70, v72, v70
	v_add_f16_e32 v71, v73, v71
	v_fma_f16 v72, v38, 0x3b76, -v77
	v_add_f16_e32 v73, v75, v74
	v_fmamk_f16 v74, v54, 0x3722, v79
	v_mul_f16_e32 v75, 0xba62, v55
	v_mul_f16_e32 v80, 0x31e1, v53
	v_add_f16_e32 v71, v72, v71
	v_fma_f16 v72, v48, 0x3722, -v76
	v_add_f16_e32 v74, v18, v74
	v_fmamk_f16 v76, v46, 0xb8d2, v75
	v_mul_f16_e32 v77, 0x3a62, v49
	v_mul_f16_e32 v82, 0x3964, v45
	v_add_f16_e32 v71, v72, v71
	v_fma_f16 v72, v44, 0xbacd, -v78
	v_add_f16_e32 v74, v76, v74
	v_fmamk_f16 v76, v47, 0xbbdd, v80
	v_mul_f16_e32 v78, 0x3bb2, v50
	v_fmamk_f16 v81, v36, 0xb8d2, v77
	v_add_f16_e32 v71, v72, v71
	v_fma_f16 v72, v36, 0xb8d2, -v77
	v_add_f16_e32 v74, v76, v74
	v_fmamk_f16 v76, v38, 0xb461, v78
	v_mul_f16_e32 v77, 0x3964, v52
	v_add_f16_e32 v73, v81, v73
	v_fmamk_f16 v81, v19, 0x39e9, v82
	v_add_f16_e32 v71, v72, v71
	v_add_f16_e32 v72, v76, v74
	v_fmamk_f16 v74, v48, 0x39e9, v77
	v_mul_f16_e32 v76, 0xb5c8, v51
	v_fma_f16 v79, v54, 0x3722, -v79
	v_fma_f16 v82, v19, 0x39e9, -v82
	v_add_f16_e32 v73, v81, v73
	v_add_f16_e32 v72, v74, v72
	v_fmamk_f16 v74, v44, 0x3b76, v76
	v_mul_f16_e32 v81, 0xb964, v61
	v_add_f16_e32 v79, v18, v79
	v_fma_f16 v75, v46, 0xb8d2, -v75
	v_add_f16_e32 v71, v82, v71
	v_add_f16_e32 v72, v74, v72
	v_mul_f16_e32 v74, 0xbbf7, v49
	v_fmamk_f16 v82, v54, 0x39e9, v81
	v_mul_f16_e32 v83, 0xbbf7, v55
	v_add_f16_e32 v75, v75, v79
	v_fma_f16 v79, v47, 0xbbdd, -v80
	v_fmamk_f16 v80, v36, 0x2de8, v74
	v_add_f16_e32 v82, v18, v82
	v_fmamk_f16 v84, v46, 0x2de8, v83
	v_mul_f16_e32 v85, 0xba62, v53
	v_add_f16_e32 v75, v79, v75
	v_fma_f16 v78, v38, 0xb461, -v78
	v_add_f16_e32 v72, v80, v72
	v_add_f16_e32 v79, v84, v82
	v_fmamk_f16 v80, v47, 0xb8d2, v85
	v_mul_f16_e32 v82, 0xb1e1, v50
	v_add_f16_e32 v75, v78, v75
	v_fma_f16 v77, v48, 0x39e9, -v77
	v_mul_f16_e32 v84, 0x3836, v52
	v_add_f16_e32 v79, v80, v79
	v_fmamk_f16 v80, v38, 0xbbdd, v82
	v_fma_f16 v76, v44, 0x3b76, -v76
	v_add_f16_e32 v75, v77, v75
	v_mul_f16_e32 v86, 0x3bb2, v51
	v_mul_f16_e32 v78, 0xb836, v45
	v_add_f16_e32 v79, v80, v79
	v_fmamk_f16 v80, v48, 0xbacd, v84
	v_add_f16_e32 v75, v76, v75
	v_fma_f16 v76, v54, 0x39e9, -v81
	v_fma_f16 v74, v36, 0x2de8, -v74
	v_mul_f16_e32 v81, 0x3b29, v49
	v_add_f16_e32 v79, v80, v79
	v_fmamk_f16 v80, v44, 0xb461, v86
	v_add_f16_e32 v76, v18, v76
	v_fma_f16 v83, v46, 0x2de8, -v83
	v_fmamk_f16 v77, v19, 0xbacd, v78
	v_add_f16_e32 v74, v74, v75
	v_fma_f16 v75, v19, 0xbacd, -v78
	v_add_f16_e32 v78, v80, v79
	v_fmamk_f16 v79, v36, 0x3722, v81
	v_add_f16_e32 v76, v83, v76
	v_fma_f16 v80, v47, 0xb8d2, -v85
	v_mul_f16_e32 v61, 0xb5c8, v61
	v_add_f16_e32 v72, v77, v72
	v_add_f16_e32 v74, v75, v74
	;; [unrolled: 1-line block ×4, first 2 shown]
	v_fma_f16 v77, v38, 0xbbdd, -v82
	v_fmamk_f16 v78, v54, 0x3b76, v61
	v_mul_f16_e32 v55, 0xb964, v55
	v_fma_f16 v54, v54, 0x3b76, -v61
	v_mul_f16_e32 v53, 0xbb29, v53
	v_add_f16_e32 v61, v77, v76
	v_add_f16_e32 v76, v18, v78
	v_fmamk_f16 v77, v46, 0x39e9, v55
	v_add_f16_e32 v18, v18, v54
	v_fma_f16 v46, v46, 0x39e9, -v55
	v_fma_f16 v54, v48, 0xbacd, -v84
	v_mul_f16_e32 v50, 0xbbf7, v50
	v_add_f16_e32 v55, v77, v76
	v_fmamk_f16 v76, v47, 0x3722, v53
	v_add_f16_e32 v18, v46, v18
	v_fma_f16 v46, v47, 0x3722, -v53
	v_add_f16_e32 v47, v54, v61
	v_fmamk_f16 v54, v38, 0x2de8, v50
	v_add_f16_e32 v53, v76, v55
	v_mul_f16_e32 v52, 0xbbb2, v52
	v_add_f16_e32 v18, v46, v18
	v_fma_f16 v38, v38, 0x2de8, -v50
	v_fma_f16 v46, v44, 0xb461, -v86
	v_add_f16_e32 v50, v54, v53
	v_fmamk_f16 v53, v48, 0xb461, v52
	v_mul_f16_e32 v51, 0xba62, v51
	v_add_f16_e32 v18, v38, v18
	v_fma_f16 v38, v48, 0xb461, -v52
	v_add_f16_e32 v46, v46, v47
	v_fma_f16 v47, v36, 0x3722, -v81
	v_add_f16_e32 v48, v53, v50
	v_fmamk_f16 v50, v44, 0xb8d2, v51
	v_add_f16_e32 v18, v38, v18
	v_fma_f16 v38, v44, 0xb8d2, -v51
	v_mul_f16_e32 v44, 0xb836, v49
	v_add_f16_e32 v46, v47, v46
	v_add_f16_e32 v47, v50, v48
	v_mov_b32_e32 v48, 0x66
	v_add_f16_e32 v18, v38, v18
	v_fma_f16 v38, v36, 0xbacd, -v44
	v_mov_b32_e32 v50, 1
	v_mul_f16_e32 v79, 0x35c8, v45
	v_mul_f16_e32 v45, 0xb1e1, v45
	v_fmamk_f16 v36, v36, 0xbacd, v44
	v_add_f16_e32 v18, v38, v18
	v_mul_u32_u24_sdwa v38, v1, v48 dst_sel:DWORD dst_unused:UNUSED_PAD src0_sel:WORD_0 src1_sel:DWORD
	v_lshlrev_b32_sdwa v44, v50, v5 dst_sel:DWORD dst_unused:UNUSED_PAD src0_sel:DWORD src1_sel:BYTE_0
	v_fma_f16 v48, v19, 0xbbdd, -v45
	v_fma_f16 v50, v19, 0x3b76, -v79
	v_fmamk_f16 v49, v19, 0x3b76, v79
	v_add_f16_e32 v36, v36, v47
	v_fmamk_f16 v19, v19, 0xbbdd, v45
	v_add3_u32 v38, 0, v38, v44
	v_add_f16_e32 v18, v48, v18
	v_add_f16_e32 v44, v50, v46
	;; [unrolled: 1-line block ×4, first 2 shown]
	ds_write_b16 v38, v63
	ds_write_b16 v38, v18 offset:6
	ds_write_b16 v38, v44 offset:12
	;; [unrolled: 1-line block ×16, first 2 shown]
.LBB0_25:
	s_or_b32 exec_lo, exec_lo, s1
	v_lshl_add_u32 v18, v6, 1, 0
	s_waitcnt lgkmcnt(0)
	s_barrier
	buffer_gl0_inv
	ds_read_u16 v45, v13 offset:816
	ds_read_u16 v50, v18
	v_lshl_add_u32 v19, v4, 1, 0
	ds_read_u16 v44, v13 offset:714
	ds_read_u16 v52, v13 offset:612
	;; [unrolled: 1-line block ×5, first 2 shown]
	ds_read_u16 v38, v13
	ds_read_u16 v36, v19
	ds_read_u16 v46, v13 offset:1326
	ds_read_u16 v53, v13 offset:1224
	;; [unrolled: 1-line block ×5, first 2 shown]
	v_mul_u32_u24_e32 v61, 6, v0
	s_waitcnt lgkmcnt(0)
	s_barrier
	buffer_gl0_inv
	s_and_saveexec_b32 s1, s0
	s_cbranch_execz .LBB0_27
; %bb.26:
	v_add_f16_e32 v62, v23, v56
	v_sub_f16_e32 v59, v59, v60
	v_add_f16_e32 v60, v43, v41
	v_add_f16_e32 v56, v56, v42
	v_sub_f16_e32 v57, v57, v58
	v_add_f16_e32 v43, v62, v43
	v_mul_f16_e32 v58, 0xb5c8, v59
	v_mul_f16_e32 v62, 0xb964, v59
	;; [unrolled: 1-line block ×4, first 2 shown]
	v_add_f16_e32 v43, v43, v34
	v_mul_f16_e32 v65, 0xbbb2, v59
	v_mul_f16_e32 v66, 0xba62, v59
	v_mul_f16_e32 v67, 0xb836, v59
	v_mul_f16_e32 v59, 0xb1e1, v59
	v_add_f16_e32 v43, v43, v30
	v_mul_f16_e32 v68, 0xb964, v57
	v_mul_f16_e32 v69, 0xbbf7, v57
	v_fmamk_f16 v73, v56, 0x3b76, v58
	v_fma_f16 v58, v56, 0x3b76, -v58
	v_add_f16_e32 v43, v43, v26
	v_fmamk_f16 v74, v56, 0x39e9, v62
	v_fma_f16 v62, v56, 0x39e9, -v62
	v_mul_f16_e32 v71, 0xb1e1, v57
	v_mul_f16_e32 v72, 0x3836, v57
	v_add_f16_e32 v43, v43, v22
	v_fmamk_f16 v75, v56, 0x3722, v63
	v_fma_f16 v63, v56, 0x3722, -v63
	v_fmamk_f16 v76, v56, 0x2de8, v64
	v_fma_f16 v64, v56, 0x2de8, -v64
	v_add_f16_e32 v43, v43, v16
	v_fmamk_f16 v77, v56, 0xb461, v65
	v_fma_f16 v65, v56, 0xb461, -v65
	v_fmamk_f16 v78, v56, 0xb8d2, v66
	v_fma_f16 v66, v56, 0xb8d2, -v66
	;; [unrolled: 5-line block ×4, first 2 shown]
	v_add_f16_e32 v43, v43, v17
	v_add_f16_e32 v73, v23, v73
	;; [unrolled: 1-line block ×23, first 2 shown]
	v_mul_f16_e32 v69, 0x3bb2, v57
	v_mul_f16_e32 v70, 0xba62, v57
	v_add_f16_e32 v41, v43, v41
	v_add_f16_e32 v43, v68, v58
	v_fma_f16 v68, v60, 0xbbdd, -v71
	v_sub_f16_e32 v39, v39, v40
	v_fmamk_f16 v82, v60, 0xb8d2, v70
	v_add_f16_e32 v41, v41, v42
	v_fmamk_f16 v42, v60, 0xbbdd, v71
	v_fma_f16 v71, v60, 0xbacd, -v72
	v_add_f16_e32 v64, v68, v64
	v_fmamk_f16 v68, v60, 0xb461, v69
	v_fma_f16 v69, v60, 0xb461, -v69
	v_fma_f16 v70, v60, 0xb8d2, -v70
	v_add_f16_e32 v65, v71, v65
	v_mul_f16_e32 v71, 0x3b29, v57
	v_mul_f16_e32 v57, 0x35c8, v57
	v_add_f16_e32 v66, v69, v66
	v_add_f16_e32 v34, v34, v37
	v_mul_f16_e32 v37, 0xbb29, v39
	v_fmamk_f16 v40, v60, 0x3722, v71
	v_fma_f16 v69, v60, 0x3722, -v71
	v_fmamk_f16 v71, v60, 0x3b76, v57
	v_fma_f16 v57, v60, 0x3b76, -v57
	v_add_f16_e32 v63, v70, v63
	v_fmamk_f16 v70, v60, 0xbacd, v72
	v_add_f16_e32 v60, v69, v67
	v_add_f16_e32 v67, v71, v80
	v_fmamk_f16 v69, v34, 0x3722, v37
	v_mul_f16_e32 v71, 0xba62, v39
	v_add_f16_e32 v23, v57, v23
	v_fma_f16 v37, v34, 0x3722, -v37
	v_mul_f16_e32 v57, 0x31e1, v39
	v_add_f16_e32 v56, v69, v56
	v_fmamk_f16 v69, v34, 0xb8d2, v71
	v_fma_f16 v71, v34, 0xb8d2, -v71
	v_add_f16_e32 v37, v37, v43
	v_fmamk_f16 v43, v34, 0xbbdd, v57
	v_mul_f16_e32 v72, 0x3bb2, v39
	v_fma_f16 v57, v34, 0xbbdd, -v57
	v_add_f16_e32 v58, v81, v74
	v_add_f16_e32 v62, v82, v75
	;; [unrolled: 1-line block ×3, first 2 shown]
	v_fma_f16 v71, v34, 0xb461, -v72
	v_add_f16_e32 v57, v57, v63
	v_mul_f16_e32 v63, 0xb5c8, v39
	v_add_f16_e32 v42, v42, v76
	v_add_f16_e32 v58, v69, v58
	;; [unrolled: 1-line block ×3, first 2 shown]
	v_fmamk_f16 v62, v34, 0xb461, v72
	v_mul_f16_e32 v69, 0x3964, v39
	v_add_f16_e32 v64, v71, v64
	v_fmamk_f16 v71, v34, 0x3b76, v63
	v_mul_f16_e32 v72, 0xbbf7, v39
	v_fma_f16 v63, v34, 0x3b76, -v63
	v_mul_f16_e32 v39, 0xb836, v39
	v_sub_f16_e32 v33, v33, v35
	v_add_f16_e32 v42, v62, v42
	v_fmamk_f16 v62, v34, 0x39e9, v69
	v_fma_f16 v69, v34, 0x39e9, -v69
	v_add_f16_e32 v63, v63, v66
	v_fma_f16 v35, v34, 0x2de8, -v72
	v_fmamk_f16 v66, v34, 0xbacd, v39
	v_add_f16_e32 v30, v30, v32
	v_mul_f16_e32 v32, 0xbbf7, v33
	v_add_f16_e32 v65, v69, v65
	v_fmamk_f16 v69, v34, 0x2de8, v72
	v_add_f16_e32 v35, v35, v60
	v_fma_f16 v34, v34, 0xbacd, -v39
	v_add_f16_e32 v39, v66, v67
	v_mul_f16_e32 v60, 0xb1e1, v33
	v_fmamk_f16 v66, v30, 0x2de8, v32
	v_fma_f16 v32, v30, 0x2de8, -v32
	v_add_f16_e32 v23, v34, v23
	v_mul_f16_e32 v34, 0x3bb2, v33
	v_fmamk_f16 v67, v30, 0xbbdd, v60
	v_add_f16_e32 v56, v66, v56
	v_add_f16_e32 v32, v32, v37
	v_fma_f16 v37, v30, 0xbbdd, -v60
	v_fmamk_f16 v60, v30, 0xb461, v34
	v_mul_f16_e32 v66, 0x35c8, v33
	v_fma_f16 v34, v30, 0xb461, -v34
	v_add_f16_e32 v58, v67, v58
	v_add_f16_e32 v37, v37, v59
	v_mul_f16_e32 v59, 0xbb29, v33
	v_add_f16_e32 v43, v60, v43
	v_fmamk_f16 v60, v30, 0x3b76, v66
	v_add_f16_e32 v34, v34, v57
	v_fma_f16 v57, v30, 0x3b76, -v66
	v_mul_f16_e32 v66, 0xb836, v33
	v_fmamk_f16 v67, v30, 0x3722, v59
	v_fma_f16 v59, v30, 0x3722, -v59
	v_add_f16_e32 v40, v40, v79
	v_add_f16_e32 v57, v57, v64
	v_fma_f16 v64, v30, 0xbacd, -v66
	v_sub_f16_e32 v29, v29, v31
	v_add_f16_e32 v59, v59, v65
	v_mul_f16_e32 v65, 0x3a62, v33
	v_mul_f16_e32 v33, 0x3964, v33
	v_add_f16_e32 v40, v69, v40
	v_add_f16_e32 v42, v60, v42
	v_fmamk_f16 v60, v30, 0xbacd, v66
	v_add_f16_e32 v63, v64, v63
	v_fmamk_f16 v31, v30, 0xb8d2, v65
	v_fma_f16 v64, v30, 0xb8d2, -v65
	v_fmamk_f16 v65, v30, 0x39e9, v33
	v_add_f16_e32 v26, v26, v28
	v_mul_f16_e32 v28, 0xbbb2, v29
	v_fma_f16 v30, v30, 0x39e9, -v33
	v_add_f16_e32 v31, v31, v40
	v_add_f16_e32 v33, v64, v35
	;; [unrolled: 1-line block ×3, first 2 shown]
	v_fmamk_f16 v39, v26, 0xb461, v28
	v_mul_f16_e32 v40, 0x3836, v29
	v_add_f16_e32 v23, v30, v23
	v_fma_f16 v28, v26, 0xb461, -v28
	v_mul_f16_e32 v30, 0x3964, v29
	v_add_f16_e32 v39, v39, v56
	v_fmamk_f16 v56, v26, 0xbacd, v40
	v_fma_f16 v40, v26, 0xbacd, -v40
	v_add_f16_e32 v28, v28, v32
	v_fmamk_f16 v32, v26, 0x39e9, v30
	v_mul_f16_e32 v64, 0xbb29, v29
	v_add_f16_e32 v56, v56, v58
	v_add_f16_e32 v37, v40, v37
	v_fma_f16 v30, v26, 0x39e9, -v30
	v_add_f16_e32 v32, v32, v43
	v_fmamk_f16 v40, v26, 0x3722, v64
	v_mul_f16_e32 v43, 0xb1e1, v29
	v_fma_f16 v58, v26, 0x3722, -v64
	v_mul_f16_e32 v64, 0xb5c8, v29
	v_add_f16_e32 v30, v30, v34
	v_add_f16_e32 v40, v40, v42
	v_fmamk_f16 v42, v26, 0xbbdd, v43
	v_fma_f16 v43, v26, 0xbbdd, -v43
	v_mul_f16_e32 v34, 0x3bf7, v29
	v_mul_f16_e32 v29, 0xba62, v29
	v_sub_f16_e32 v25, v25, v27
	v_add_f16_e32 v57, v58, v57
	v_add_f16_e32 v43, v43, v59
	v_fmamk_f16 v59, v26, 0x3b76, v64
	v_fmamk_f16 v58, v26, 0x2de8, v34
	v_fma_f16 v34, v26, 0x2de8, -v34
	v_fma_f16 v27, v26, 0x3b76, -v64
	v_add_f16_e32 v22, v22, v24
	v_add_f16_e32 v31, v59, v31
	v_fmamk_f16 v59, v26, 0xb8d2, v29
	v_mul_f16_e32 v24, 0xba62, v25
	v_fma_f16 v26, v26, 0xb8d2, -v29
	v_add_f16_e32 v27, v27, v33
	v_mul_f16_e32 v33, 0x3bb2, v25
	v_add_f16_e32 v29, v59, v35
	v_fmamk_f16 v35, v22, 0xb8d2, v24
	v_fma_f16 v24, v22, 0xb8d2, -v24
	v_add_f16_e32 v23, v26, v23
	v_mul_f16_e32 v26, 0xb5c8, v25
	v_fmamk_f16 v59, v22, 0xb461, v33
	v_add_f16_e32 v35, v35, v39
	v_add_f16_e32 v24, v24, v28
	v_fma_f16 v28, v22, 0xb461, -v33
	v_fmamk_f16 v33, v22, 0x3b76, v26
	v_add_f16_e32 v39, v59, v56
	v_mul_f16_e32 v56, 0xb836, v25
	v_fma_f16 v26, v22, 0x3b76, -v26
	v_add_f16_e32 v28, v28, v37
	v_add_f16_e32 v32, v33, v32
	v_mul_f16_e32 v33, 0x3bf7, v25
	v_fmamk_f16 v37, v22, 0xbacd, v56
	v_add_f16_e32 v26, v26, v30
	v_fma_f16 v30, v22, 0xbacd, -v56
	v_mul_f16_e32 v56, 0xb964, v25
	v_fmamk_f16 v59, v22, 0x2de8, v33
	v_fma_f16 v33, v22, 0x2de8, -v33
	v_add_f16_e32 v34, v34, v63
	v_add_f16_e32 v37, v37, v40
	v_fmamk_f16 v40, v22, 0x39e9, v56
	v_fma_f16 v56, v22, 0x39e9, -v56
	v_add_f16_e32 v33, v33, v43
	v_mul_f16_e32 v43, 0xb1e1, v25
	v_mul_f16_e32 v25, 0x3b29, v25
	v_sub_f16_e32 v20, v20, v21
	v_add_f16_e32 v68, v68, v78
	v_add_f16_e32 v34, v56, v34
	v_fmamk_f16 v21, v22, 0xbbdd, v43
	v_fma_f16 v43, v22, 0xbbdd, -v43
	v_fmamk_f16 v56, v22, 0x3722, v25
	v_add_f16_e32 v16, v16, v17
	v_mul_f16_e32 v17, 0xb836, v20
	v_fma_f16 v22, v22, 0x3722, -v25
	v_add_f16_e32 v68, v71, v68
	v_add_f16_e32 v21, v21, v31
	;; [unrolled: 1-line block ×4, first 2 shown]
	v_fmamk_f16 v29, v16, 0xbacd, v17
	v_mul_f16_e32 v31, 0x3b29, v20
	v_add_f16_e32 v22, v22, v23
	v_fma_f16 v17, v16, 0xbacd, -v17
	v_mul_f16_e32 v23, 0xbbf7, v20
	v_add_f16_e32 v60, v60, v68
	v_add_f16_e32 v29, v29, v35
	v_fmamk_f16 v35, v16, 0x3722, v31
	v_fma_f16 v31, v16, 0x3722, -v31
	v_add_f16_e32 v17, v17, v24
	v_fmamk_f16 v24, v16, 0x2de8, v23
	v_mul_f16_e32 v43, 0x3a62, v20
	v_fma_f16 v23, v16, 0x2de8, -v23
	v_add_f16_e32 v58, v58, v60
	v_add_f16_e32 v30, v30, v57
	;; [unrolled: 1-line block ×5, first 2 shown]
	v_fmamk_f16 v31, v16, 0xb8d2, v43
	v_mul_f16_e32 v32, 0xb5c8, v20
	v_fma_f16 v39, v16, 0xb8d2, -v43
	v_add_f16_e32 v23, v23, v26
	v_mul_f16_e32 v26, 0xb1e1, v20
	v_mul_f16_e32 v43, 0x3964, v20
	v_add_f16_e32 v40, v40, v58
	v_add_f16_e32 v31, v31, v37
	v_fmamk_f16 v37, v16, 0x3b76, v32
	v_add_f16_e32 v30, v39, v30
	v_fma_f16 v32, v16, 0x3b76, -v32
	v_fmamk_f16 v39, v16, 0xbbdd, v26
	v_fma_f16 v26, v16, 0xbbdd, -v26
	v_mul_f16_e32 v20, 0xbbb2, v20
	v_sub_f16_e32 v14, v14, v15
	v_fma_f16 v15, v16, 0x39e9, -v43
	v_add_f16_e32 v70, v70, v77
	v_add_f16_e32 v32, v32, v33
	;; [unrolled: 1-line block ×3, first 2 shown]
	v_fmamk_f16 v39, v16, 0x39e9, v43
	v_add_f16_e32 v26, v26, v34
	v_fmamk_f16 v34, v16, 0xb461, v20
	v_add_f16_e32 v7, v7, v9
	v_mul_f16_e32 v9, 0xb1e1, v14
	v_add_f16_e32 v15, v15, v25
	v_fma_f16 v16, v16, 0xb461, -v20
	v_mul_f16_e32 v25, 0x35c8, v14
	v_add_f16_e32 v62, v62, v70
	v_add_f16_e32 v20, v34, v27
	v_fmamk_f16 v27, v7, 0xbbdd, v9
	v_fma_f16 v9, v7, 0xbbdd, -v9
	v_add_f16_e32 v16, v16, v22
	v_mul_f16_e32 v22, 0xb836, v14
	v_fmamk_f16 v34, v7, 0x3b76, v25
	v_add_f16_e32 v62, v67, v62
	v_add_f16_e32 v27, v27, v29
	;; [unrolled: 1-line block ×3, first 2 shown]
	v_fma_f16 v17, v7, 0x3b76, -v25
	v_fmamk_f16 v25, v7, 0xbacd, v22
	v_add_f16_e32 v29, v34, v35
	v_fma_f16 v22, v7, 0xbacd, -v22
	v_mul_f16_e32 v34, 0x3964, v14
	v_add_f16_e32 v42, v42, v62
	v_add_f16_e32 v17, v17, v28
	v_add_f16_e32 v24, v25, v24
	v_mul_f16_e32 v25, 0xba62, v14
	v_add_f16_e32 v22, v22, v23
	v_fmamk_f16 v23, v7, 0x39e9, v34
	v_mul_f16_e32 v28, 0x3b29, v14
	v_add_f16_e32 v42, v59, v42
	v_fmamk_f16 v35, v7, 0xb8d2, v25
	v_fma_f16 v25, v7, 0xb8d2, -v25
	v_add_f16_e32 v23, v23, v31
	v_fmamk_f16 v31, v7, 0x3722, v28
	v_add_f16_e32 v37, v37, v42
	v_fma_f16 v34, v7, 0x39e9, -v34
	v_add_f16_e32 v25, v25, v32
	v_mov_b32_e32 v32, 0x66
	v_add_f16_e32 v31, v31, v33
	v_mov_b32_e32 v33, 1
	v_add_f16_e32 v30, v34, v30
	v_add_f16_e32 v34, v35, v37
	v_fma_f16 v28, v7, 0x3722, -v28
	v_mul_f16_e32 v35, 0xbbb2, v14
	v_mul_f16_e32 v14, 0x3bf7, v14
	v_mul_u32_u24_sdwa v1, v1, v32 dst_sel:DWORD dst_unused:UNUSED_PAD src0_sel:WORD_0 src1_sel:DWORD
	v_lshlrev_b32_sdwa v5, v33, v5 dst_sel:DWORD dst_unused:UNUSED_PAD src0_sel:DWORD src1_sel:BYTE_0
	v_add_f16_e32 v21, v39, v21
	v_add_f16_e32 v26, v28, v26
	v_fmamk_f16 v28, v7, 0xb461, v35
	v_fma_f16 v32, v7, 0xb461, -v35
	v_fmamk_f16 v33, v7, 0x2de8, v14
	v_fma_f16 v7, v7, 0x2de8, -v14
	v_add3_u32 v1, 0, v1, v5
	v_add_f16_e32 v5, v28, v21
	v_add_f16_e32 v14, v32, v15
	;; [unrolled: 1-line block ×4, first 2 shown]
	ds_write_b16 v1, v41
	ds_write_b16 v1, v27 offset:6
	ds_write_b16 v1, v29 offset:12
	;; [unrolled: 1-line block ×16, first 2 shown]
.LBB0_27:
	s_or_b32 exec_lo, exec_lo, s1
	v_lshlrev_b32_e32 v1, 2, v61
	s_waitcnt lgkmcnt(0)
	s_barrier
	buffer_gl0_inv
	v_lshl_add_u32 v30, v8, 1, 0
	s_clause 0x1
	global_load_dwordx4 v[14:17], v1, s[8:9] offset:192
	global_load_dwordx2 v[20:21], v1, s[8:9] offset:208
	ds_read_u16 v1, v18
	ds_read_u16 v5, v13 offset:408
	ds_read_u16 v7, v13 offset:612
	ds_read_u16 v9, v13
	ds_read_u16 v22, v13 offset:816
	ds_read_u16 v23, v13 offset:1020
	;; [unrolled: 1-line block ×7, first 2 shown]
	ds_read_u16 v29, v19
	ds_read_u16 v31, v13 offset:1326
	ds_read_u16 v32, v13 offset:1122
	s_waitcnt vmcnt(0) lgkmcnt(0)
	s_barrier
	buffer_gl0_inv
	v_mul_f16_sdwa v33, v1, v14 dst_sel:DWORD dst_unused:UNUSED_PAD src0_sel:DWORD src1_sel:WORD_1
	v_mul_f16_sdwa v34, v50, v14 dst_sel:DWORD dst_unused:UNUSED_PAD src0_sel:DWORD src1_sel:WORD_1
	;; [unrolled: 1-line block ×24, first 2 shown]
	v_fma_f16 v33, v50, v14, -v33
	v_fmac_f16_e32 v34, v1, v14
	v_fma_f16 v1, v54, v15, -v35
	v_fmac_f16_e32 v42, v22, v17
	;; [unrolled: 2-line block ×12, first 2 shown]
	v_add_f16_e32 v21, v33, v23
	v_add_f16_e32 v27, v1, v22
	;; [unrolled: 1-line block ×3, first 2 shown]
	v_sub_f16_e32 v23, v33, v23
	v_sub_f16_e32 v26, v34, v58
	v_add_f16_e32 v28, v37, v56
	v_sub_f16_e32 v1, v1, v22
	v_sub_f16_e32 v22, v37, v56
	v_add_f16_e32 v31, v5, v7
	v_add_f16_e32 v32, v40, v42
	v_sub_f16_e32 v5, v7, v5
	v_sub_f16_e32 v7, v42, v40
	v_add_f16_e32 v33, v24, v20
	v_add_f16_e32 v34, v60, v70
	;; [unrolled: 1-line block ×4, first 2 shown]
	v_sub_f16_e32 v20, v24, v20
	v_sub_f16_e32 v14, v14, v17
	v_add_f16_e32 v39, v15, v16
	v_sub_f16_e32 v15, v16, v15
	v_add_f16_e32 v41, v27, v21
	v_sub_f16_e32 v24, v60, v70
	v_sub_f16_e32 v17, v62, v68
	v_add_f16_e32 v40, v64, v66
	v_sub_f16_e32 v16, v66, v64
	v_add_f16_e32 v42, v28, v25
	v_sub_f16_e32 v43, v27, v21
	v_sub_f16_e32 v44, v28, v25
	;; [unrolled: 1-line block ×6, first 2 shown]
	v_add_f16_e32 v45, v5, v1
	v_add_f16_e32 v46, v7, v22
	v_sub_f16_e32 v47, v5, v1
	v_sub_f16_e32 v48, v7, v22
	;; [unrolled: 1-line block ×4, first 2 shown]
	v_add_f16_e32 v49, v35, v33
	v_add_f16_e32 v50, v37, v34
	;; [unrolled: 1-line block ×3, first 2 shown]
	v_sub_f16_e32 v55, v15, v14
	v_sub_f16_e32 v14, v14, v20
	v_add_f16_e32 v31, v31, v41
	v_sub_f16_e32 v5, v23, v5
	v_sub_f16_e32 v7, v26, v7
	;; [unrolled: 1-line block ×8, first 2 shown]
	v_add_f16_e32 v54, v16, v17
	v_sub_f16_e32 v56, v16, v17
	v_sub_f16_e32 v17, v17, v24
	v_add_f16_e32 v32, v32, v42
	v_add_f16_e32 v23, v45, v23
	;; [unrolled: 1-line block ×3, first 2 shown]
	v_mul_f16_e32 v21, 0x3a52, v21
	v_mul_f16_e32 v25, 0x3a52, v25
	;; [unrolled: 1-line block ×8, first 2 shown]
	v_add_f16_e32 v39, v39, v49
	v_add_f16_e32 v40, v40, v50
	v_sub_f16_e32 v15, v20, v15
	v_add_f16_e32 v20, v53, v20
	v_mul_f16_e32 v53, 0xb846, v55
	v_mul_f16_e32 v55, 0x3b00, v14
	v_add_f16_e32 v38, v38, v31
	v_sub_f16_e32 v16, v24, v16
	v_add_f16_e32 v24, v54, v24
	v_mul_f16_e32 v33, 0x3a52, v33
	v_mul_f16_e32 v34, 0x3a52, v34
	;; [unrolled: 1-line block ×6, first 2 shown]
	v_add_f16_e32 v9, v9, v32
	v_fmamk_f16 v27, v27, 0x2b26, v21
	v_fmamk_f16 v28, v28, 0x2b26, v25
	v_fma_f16 v41, v43, 0x39e0, -v41
	v_fma_f16 v42, v44, 0x39e0, -v42
	;; [unrolled: 1-line block ×4, first 2 shown]
	v_fmamk_f16 v43, v5, 0x3574, v45
	v_fmamk_f16 v44, v7, 0x3574, v46
	v_fma_f16 v1, v1, 0x3b00, -v45
	v_fma_f16 v22, v22, 0x3b00, -v46
	;; [unrolled: 1-line block ×4, first 2 shown]
	v_add_f16_e32 v36, v36, v39
	v_add_f16_e32 v45, v29, v40
	v_fmamk_f16 v47, v15, 0x3574, v53
	v_fma_f16 v14, v14, 0x3b00, -v53
	v_fma_f16 v15, v15, 0xb574, -v55
	v_fmamk_f16 v31, v31, 0xbcab, v38
	v_fmamk_f16 v29, v35, 0x2b26, v33
	;; [unrolled: 1-line block ×3, first 2 shown]
	v_fma_f16 v37, v51, 0x39e0, -v49
	v_fma_f16 v46, v52, 0x39e0, -v50
	v_fma_f16 v33, v51, 0xb9e0, -v33
	v_fma_f16 v34, v52, 0xb9e0, -v34
	v_fmamk_f16 v48, v16, 0x3574, v54
	v_fma_f16 v17, v17, 0x3b00, -v54
	v_fma_f16 v16, v16, 0xb574, -v56
	v_fmamk_f16 v32, v32, 0xbcab, v9
	v_fmac_f16_e32 v43, 0x370e, v23
	v_fmac_f16_e32 v44, 0x370e, v26
	;; [unrolled: 1-line block ×6, first 2 shown]
	v_fmamk_f16 v23, v39, 0xbcab, v36
	v_fmamk_f16 v26, v40, 0xbcab, v45
	v_fmac_f16_e32 v47, 0x370e, v20
	v_fmac_f16_e32 v14, 0x370e, v20
	;; [unrolled: 1-line block ×3, first 2 shown]
	v_add_f16_e32 v20, v27, v31
	v_add_f16_e32 v21, v21, v31
	;; [unrolled: 1-line block ×3, first 2 shown]
	v_fmac_f16_e32 v48, 0x370e, v24
	v_fmac_f16_e32 v17, 0x370e, v24
	;; [unrolled: 1-line block ×3, first 2 shown]
	v_add_f16_e32 v24, v28, v32
	v_add_f16_e32 v28, v42, v32
	;; [unrolled: 1-line block ×10, first 2 shown]
	ds_write_b16 v13, v38
	ds_write_b16 v13, v36 offset:714
	v_add_f16_e32 v36, v7, v21
	v_sub_f16_e32 v38, v27, v22
	v_add_f16_e32 v22, v22, v27
	v_sub_f16_e32 v34, v24, v43
	v_sub_f16_e32 v37, v25, v5
	;; [unrolled: 1-line block ×3, first 2 shown]
	v_add_f16_e32 v5, v5, v25
	v_sub_f16_e32 v20, v20, v44
	v_add_f16_e32 v40, v43, v24
	v_add_f16_e32 v21, v48, v29
	;; [unrolled: 1-line block ×3, first 2 shown]
	v_sub_f16_e32 v42, v26, v15
	v_sub_f16_e32 v25, v32, v17
	v_add_f16_e32 v43, v14, v35
	v_add_f16_e32 v17, v17, v32
	v_sub_f16_e32 v32, v35, v14
	v_sub_f16_e32 v14, v23, v16
	v_add_f16_e32 v35, v15, v26
	v_sub_f16_e32 v15, v29, v48
	v_add_f16_e32 v39, v1, v28
	v_sub_f16_e32 v1, v28, v1
	ds_write_b16 v13, v33 offset:102
	ds_write_b16 v13, v36 offset:204
	;; [unrolled: 1-line block ×12, first 2 shown]
	s_waitcnt lgkmcnt(0)
	s_barrier
	buffer_gl0_inv
	ds_read_u16 v15, v13 offset:408
	ds_read_u16 v17, v13 offset:510
	;; [unrolled: 1-line block ×4, first 2 shown]
	ds_read_u16 v14, v13
	ds_read_u16 v21, v30
	;; [unrolled: 1-line block ×4, first 2 shown]
	ds_read_u16 v24, v13 offset:816
	ds_read_u16 v25, v13 offset:918
	;; [unrolled: 1-line block ×6, first 2 shown]
	v_sub_f16_e32 v41, v31, v47
	v_add_f16_e32 v31, v47, v31
	s_waitcnt lgkmcnt(0)
	s_barrier
	buffer_gl0_inv
	ds_write_b16 v13, v9
	ds_write_b16 v13, v34 offset:102
	ds_write_b16 v13, v37 offset:204
	;; [unrolled: 1-line block ×13, first 2 shown]
	s_waitcnt lgkmcnt(0)
	s_barrier
	buffer_gl0_inv
	s_and_saveexec_b32 s0, vcc_lo
	s_cbranch_execz .LBB0_29
; %bb.28:
	v_mov_b32_e32 v1, 0
	v_add_nc_u32_e32 v41, 0xcc, v0
	v_add_nc_u32_e32 v38, 0x198, v0
	;; [unrolled: 1-line block ×4, first 2 shown]
	v_lshlrev_b64 v[31:32], 2, v[0:1]
	v_mov_b32_e32 v9, v1
	v_mov_b32_e32 v7, v1
	;; [unrolled: 1-line block ×3, first 2 shown]
	v_add_nc_u32_e32 v40, 0x1fe, v0
	v_add_nc_u32_e32 v43, 0x132, v0
	v_add_co_u32 v31, vcc_lo, s8, v31
	v_lshlrev_b64 v[8:9], 2, v[8:9]
	v_add_co_ci_u32_e32 v32, vcc_lo, s9, v32, vcc_lo
	v_lshlrev_b64 v[6:7], 2, v[6:7]
	v_add_co_u32 v33, vcc_lo, 0x800, v31
	v_add_co_ci_u32_e32 v34, vcc_lo, 0, v32, vcc_lo
	v_add_co_u32 v8, vcc_lo, s8, v8
	v_lshlrev_b64 v[4:5], 2, v[4:5]
	v_add_co_ci_u32_e32 v9, vcc_lo, s9, v9, vcc_lo
	v_add_co_u32 v6, vcc_lo, s8, v6
	v_add_co_ci_u32_e32 v7, vcc_lo, s9, v7, vcc_lo
	v_add_co_u32 v4, vcc_lo, s8, v4
	v_add_co_ci_u32_e32 v5, vcc_lo, s9, v5, vcc_lo
	s_clause 0x6
	global_load_dword v49, v[33:34], off offset:592
	global_load_dword v50, v[8:9], off offset:1416
	;; [unrolled: 1-line block ×7, first 2 shown]
	v_mad_u64_u32 v[4:5], null, s2, v0, 0
	ds_read_u16 v56, v13 offset:1326
	ds_read_u16 v57, v13 offset:1224
	;; [unrolled: 1-line block ×3, first 2 shown]
	ds_read_u16 v59, v18
	ds_read_u16 v60, v30
	;; [unrolled: 1-line block ×3, first 2 shown]
	ds_read_u16 v62, v13 offset:1020
	ds_read_u16 v63, v13 offset:918
	;; [unrolled: 1-line block ×7, first 2 shown]
	ds_read_u16 v69, v13
	v_add_nc_u32_e32 v13, 0x165, v0
	v_mad_u64_u32 v[6:7], null, s2, v10, 0
	v_mad_u64_u32 v[8:9], null, s2, v12, 0
	v_add_co_u32 v70, vcc_lo, s12, v2
	v_mad_u64_u32 v[18:19], null, s2, v13, 0
	v_mul_hi_u32 v44, 0x16f26017, v41
	v_mad_u64_u32 v[1:2], null, s2, v11, 0
	v_add_co_ci_u32_e32 v71, vcc_lo, s13, v3, vcc_lo
	v_mad_u64_u32 v[30:31], null, s2, v38, 0
	v_mad_u64_u32 v[32:33], null, s2, v39, 0
	v_mov_b32_e32 v3, v5
	v_mul_hi_u32 v45, 0x16f26017, v42
	v_mad_u64_u32 v[34:35], null, s2, v40, 0
	v_mul_hi_u32 v46, 0x16f26017, v43
	v_mov_b32_e32 v5, v7
	v_mov_b32_e32 v7, v9
	v_mad_u64_u32 v[36:37], null, s3, v0, v[3:4]
	v_mov_b32_e32 v0, v19
	v_lshrrev_b32_e32 v19, 5, v44
	v_mad_u64_u32 v[2:3], null, s3, v11, v[2:3]
	v_mov_b32_e32 v3, v31
	v_mad_u64_u32 v[9:10], null, s3, v10, v[5:6]
	v_mov_b32_e32 v5, v33
	v_lshrrev_b32_e32 v31, 5, v45
	v_mad_u64_u32 v[10:11], null, s3, v12, v[7:8]
	v_mov_b32_e32 v7, v35
	v_lshrrev_b32_e32 v33, 5, v46
	v_mad_u32_u24 v45, 0x165, v19, v41
	v_mad_u64_u32 v[11:12], null, s3, v13, v[0:1]
	v_mad_u64_u32 v[12:13], null, s3, v38, v[3:4]
	;; [unrolled: 1-line block ×3, first 2 shown]
	v_mov_b32_e32 v5, v36
	v_mad_u32_u24 v46, 0x165, v31, v42
	v_mad_u64_u32 v[38:39], null, s3, v40, v[7:8]
	v_mad_u32_u24 v47, 0x165, v33, v43
	v_mad_u64_u32 v[39:40], null, s2, v45, 0
	v_lshlrev_b64 v[3:4], 2, v[4:5]
	v_mov_b32_e32 v7, v9
	v_mad_u64_u32 v[41:42], null, s2, v46, 0
	v_mov_b32_e32 v9, v10
	v_add_nc_u32_e32 v48, 0x165, v45
	v_mad_u64_u32 v[43:44], null, s2, v47, 0
	v_lshlrev_b64 v[0:1], 2, v[1:2]
	v_add_nc_u32_e32 v72, 0x165, v46
	v_lshlrev_b64 v[5:6], 2, v[6:7]
	v_mov_b32_e32 v2, v40
	v_add_co_u32 v3, vcc_lo, v70, v3
	v_add_nc_u32_e32 v73, 0x165, v47
	v_mov_b32_e32 v19, v11
	v_lshlrev_b64 v[7:8], 2, v[8:9]
	v_mad_u64_u32 v[9:10], null, s2, v48, 0
	v_add_co_ci_u32_e32 v4, vcc_lo, v71, v4, vcc_lo
	v_mov_b32_e32 v31, v12
	v_mad_u64_u32 v[11:12], null, s2, v72, 0
	v_mov_b32_e32 v13, v42
	v_add_co_u32 v0, vcc_lo, v70, v0
	v_mov_b32_e32 v35, v38
	v_mov_b32_e32 v38, v44
	v_add_co_ci_u32_e32 v1, vcc_lo, v71, v1, vcc_lo
	v_mad_u64_u32 v[44:45], null, s3, v45, v[2:3]
	v_mov_b32_e32 v33, v37
	v_mad_u64_u32 v[36:37], null, s2, v73, 0
	v_lshlrev_b64 v[18:19], 2, v[18:19]
	v_add_co_u32 v5, vcc_lo, v70, v5
	v_add_co_ci_u32_e32 v6, vcc_lo, v71, v6, vcc_lo
	v_mad_u64_u32 v[45:46], null, s3, v46, v[13:14]
	v_lshlrev_b64 v[30:31], 2, v[30:31]
	v_add_co_u32 v7, vcc_lo, v70, v7
	v_mov_b32_e32 v2, v10
	v_add_co_ci_u32_e32 v8, vcc_lo, v71, v8, vcc_lo
	v_mov_b32_e32 v10, v12
	v_mad_u64_u32 v[12:13], null, s3, v47, v[38:39]
	v_lshlrev_b64 v[32:33], 2, v[32:33]
	v_add_co_u32 v18, vcc_lo, v70, v18
	v_mov_b32_e32 v40, v44
	v_mov_b32_e32 v13, v37
	v_add_co_ci_u32_e32 v19, vcc_lo, v71, v19, vcc_lo
	v_mad_u64_u32 v[37:38], null, s3, v48, v[2:3]
	v_lshlrev_b64 v[34:35], 2, v[34:35]
	v_add_co_u32 v30, vcc_lo, v70, v30
	v_mov_b32_e32 v42, v45
	v_add_co_ci_u32_e32 v31, vcc_lo, v71, v31, vcc_lo
	v_mad_u64_u32 v[46:47], null, s3, v72, v[10:11]
	v_add_co_u32 v32, vcc_lo, v70, v32
	v_lshlrev_b64 v[38:39], 2, v[39:40]
	v_mov_b32_e32 v44, v12
	v_add_co_ci_u32_e32 v33, vcc_lo, v71, v33, vcc_lo
	v_mad_u64_u32 v[47:48], null, s3, v73, v[13:14]
	v_add_co_u32 v34, vcc_lo, v70, v34
	v_lshlrev_b64 v[40:41], 2, v[41:42]
	v_mov_b32_e32 v10, v37
	v_add_co_ci_u32_e32 v35, vcc_lo, v71, v35, vcc_lo
	v_lshlrev_b64 v[42:43], 2, v[43:44]
	v_add_co_u32 v38, vcc_lo, v70, v38
	v_mov_b32_e32 v12, v46
	v_add_co_ci_u32_e32 v39, vcc_lo, v71, v39, vcc_lo
	v_lshlrev_b64 v[9:10], 2, v[9:10]
	v_add_co_u32 v40, vcc_lo, v70, v40
	;; [unrolled: 4-line block ×3, first 2 shown]
	v_add_co_ci_u32_e32 v43, vcc_lo, v71, v43, vcc_lo
	v_lshlrev_b64 v[36:37], 2, v[36:37]
	v_add_co_u32 v9, vcc_lo, v70, v9
	v_add_co_ci_u32_e32 v10, vcc_lo, v71, v10, vcc_lo
	v_add_co_u32 v11, vcc_lo, v70, v11
	v_add_co_ci_u32_e32 v12, vcc_lo, v71, v12, vcc_lo
	;; [unrolled: 2-line block ×3, first 2 shown]
	s_waitcnt vmcnt(6) lgkmcnt(13)
	v_mul_f16_sdwa v2, v56, v49 dst_sel:DWORD dst_unused:UNUSED_PAD src0_sel:DWORD src1_sel:WORD_1
	v_mul_f16_sdwa v13, v29, v49 dst_sel:DWORD dst_unused:UNUSED_PAD src0_sel:DWORD src1_sel:WORD_1
	s_waitcnt vmcnt(4) lgkmcnt(6)
	v_mul_f16_sdwa v71, v63, v51 dst_sel:DWORD dst_unused:UNUSED_PAD src0_sel:DWORD src1_sel:WORD_1
	s_waitcnt vmcnt(3) lgkmcnt(5)
	v_mul_f16_sdwa v73, v64, v52 dst_sel:DWORD dst_unused:UNUSED_PAD src0_sel:DWORD src1_sel:WORD_1
	v_mul_f16_sdwa v74, v24, v52 dst_sel:DWORD dst_unused:UNUSED_PAD src0_sel:DWORD src1_sel:WORD_1
	s_waitcnt vmcnt(1)
	v_mul_f16_sdwa v47, v27, v54 dst_sel:DWORD dst_unused:UNUSED_PAD src0_sel:DWORD src1_sel:WORD_1
	s_waitcnt vmcnt(0) lgkmcnt(4)
	v_mul_f16_sdwa v75, v65, v55 dst_sel:DWORD dst_unused:UNUSED_PAD src0_sel:DWORD src1_sel:WORD_1
	v_mul_f16_sdwa v76, v23, v55 dst_sel:DWORD dst_unused:UNUSED_PAD src0_sel:DWORD src1_sel:WORD_1
	;; [unrolled: 1-line block ×8, first 2 shown]
	v_fma_f16 v23, v23, v55, -v75
	v_fmac_f16_e32 v76, v55, v65
	v_fmac_f16_e32 v47, v54, v58
	v_fma_f16 v24, v24, v52, -v73
	v_fmac_f16_e32 v74, v52, v64
	v_fma_f16 v25, v25, v51, -v71
	;; [unrolled: 2-line block ×5, first 2 shown]
	v_fma_f16 v26, v26, v50, -v48
	v_fmac_f16_e32 v70, v50, v62
	v_sub_f16_e32 v23, v14, v23
	s_waitcnt lgkmcnt(0)
	v_sub_f16_e32 v48, v69, v76
	v_sub_f16_e32 v44, v68, v47
	;; [unrolled: 1-line block ×13, first 2 shown]
	v_fma_f16 v14, v14, 2.0, -v23
	v_fma_f16 v55, v69, 2.0, -v48
	;; [unrolled: 1-line block ×14, first 2 shown]
	v_pack_b32_f16 v2, v2, v13
	v_pack_b32_f16 v13, v14, v55
	;; [unrolled: 1-line block ×14, first 2 shown]
	global_store_dword v[3:4], v13, off
	global_store_dword v[18:19], v23, off
	;; [unrolled: 1-line block ×14, first 2 shown]
.LBB0_29:
	s_endpgm
	.section	.rodata,"a",@progbits
	.p2align	6, 0x0
	.amdhsa_kernel fft_rtc_fwd_len714_factors_3_17_7_2_wgs_51_tpt_51_halfLds_half_ip_CI_sbrr_dirReg
		.amdhsa_group_segment_fixed_size 0
		.amdhsa_private_segment_fixed_size 0
		.amdhsa_kernarg_size 88
		.amdhsa_user_sgpr_count 6
		.amdhsa_user_sgpr_private_segment_buffer 1
		.amdhsa_user_sgpr_dispatch_ptr 0
		.amdhsa_user_sgpr_queue_ptr 0
		.amdhsa_user_sgpr_kernarg_segment_ptr 1
		.amdhsa_user_sgpr_dispatch_id 0
		.amdhsa_user_sgpr_flat_scratch_init 0
		.amdhsa_user_sgpr_private_segment_size 0
		.amdhsa_wavefront_size32 1
		.amdhsa_uses_dynamic_stack 0
		.amdhsa_system_sgpr_private_segment_wavefront_offset 0
		.amdhsa_system_sgpr_workgroup_id_x 1
		.amdhsa_system_sgpr_workgroup_id_y 0
		.amdhsa_system_sgpr_workgroup_id_z 0
		.amdhsa_system_sgpr_workgroup_info 0
		.amdhsa_system_vgpr_workitem_id 0
		.amdhsa_next_free_vgpr 95
		.amdhsa_next_free_sgpr 23
		.amdhsa_reserve_vcc 1
		.amdhsa_reserve_flat_scratch 0
		.amdhsa_float_round_mode_32 0
		.amdhsa_float_round_mode_16_64 0
		.amdhsa_float_denorm_mode_32 3
		.amdhsa_float_denorm_mode_16_64 3
		.amdhsa_dx10_clamp 1
		.amdhsa_ieee_mode 1
		.amdhsa_fp16_overflow 0
		.amdhsa_workgroup_processor_mode 1
		.amdhsa_memory_ordered 1
		.amdhsa_forward_progress 0
		.amdhsa_shared_vgpr_count 0
		.amdhsa_exception_fp_ieee_invalid_op 0
		.amdhsa_exception_fp_denorm_src 0
		.amdhsa_exception_fp_ieee_div_zero 0
		.amdhsa_exception_fp_ieee_overflow 0
		.amdhsa_exception_fp_ieee_underflow 0
		.amdhsa_exception_fp_ieee_inexact 0
		.amdhsa_exception_int_div_zero 0
	.end_amdhsa_kernel
	.text
.Lfunc_end0:
	.size	fft_rtc_fwd_len714_factors_3_17_7_2_wgs_51_tpt_51_halfLds_half_ip_CI_sbrr_dirReg, .Lfunc_end0-fft_rtc_fwd_len714_factors_3_17_7_2_wgs_51_tpt_51_halfLds_half_ip_CI_sbrr_dirReg
                                        ; -- End function
	.section	.AMDGPU.csdata,"",@progbits
; Kernel info:
; codeLenInByte = 12836
; NumSgprs: 25
; NumVgprs: 95
; ScratchSize: 0
; MemoryBound: 0
; FloatMode: 240
; IeeeMode: 1
; LDSByteSize: 0 bytes/workgroup (compile time only)
; SGPRBlocks: 3
; VGPRBlocks: 11
; NumSGPRsForWavesPerEU: 25
; NumVGPRsForWavesPerEU: 95
; Occupancy: 10
; WaveLimiterHint : 1
; COMPUTE_PGM_RSRC2:SCRATCH_EN: 0
; COMPUTE_PGM_RSRC2:USER_SGPR: 6
; COMPUTE_PGM_RSRC2:TRAP_HANDLER: 0
; COMPUTE_PGM_RSRC2:TGID_X_EN: 1
; COMPUTE_PGM_RSRC2:TGID_Y_EN: 0
; COMPUTE_PGM_RSRC2:TGID_Z_EN: 0
; COMPUTE_PGM_RSRC2:TIDIG_COMP_CNT: 0
	.text
	.p2alignl 6, 3214868480
	.fill 48, 4, 3214868480
	.type	__hip_cuid_800fcf757fb2ad93,@object ; @__hip_cuid_800fcf757fb2ad93
	.section	.bss,"aw",@nobits
	.globl	__hip_cuid_800fcf757fb2ad93
__hip_cuid_800fcf757fb2ad93:
	.byte	0                               ; 0x0
	.size	__hip_cuid_800fcf757fb2ad93, 1

	.ident	"AMD clang version 19.0.0git (https://github.com/RadeonOpenCompute/llvm-project roc-6.4.0 25133 c7fe45cf4b819c5991fe208aaa96edf142730f1d)"
	.section	".note.GNU-stack","",@progbits
	.addrsig
	.addrsig_sym __hip_cuid_800fcf757fb2ad93
	.amdgpu_metadata
---
amdhsa.kernels:
  - .args:
      - .actual_access:  read_only
        .address_space:  global
        .offset:         0
        .size:           8
        .value_kind:     global_buffer
      - .offset:         8
        .size:           8
        .value_kind:     by_value
      - .actual_access:  read_only
        .address_space:  global
        .offset:         16
        .size:           8
        .value_kind:     global_buffer
      - .actual_access:  read_only
        .address_space:  global
        .offset:         24
        .size:           8
        .value_kind:     global_buffer
      - .offset:         32
        .size:           8
        .value_kind:     by_value
      - .actual_access:  read_only
        .address_space:  global
        .offset:         40
        .size:           8
        .value_kind:     global_buffer
      - .actual_access:  read_only
        .address_space:  global
        .offset:         48
        .size:           8
        .value_kind:     global_buffer
      - .offset:         56
        .size:           4
        .value_kind:     by_value
      - .actual_access:  read_only
        .address_space:  global
        .offset:         64
        .size:           8
        .value_kind:     global_buffer
      - .actual_access:  read_only
        .address_space:  global
        .offset:         72
        .size:           8
        .value_kind:     global_buffer
      - .address_space:  global
        .offset:         80
        .size:           8
        .value_kind:     global_buffer
    .group_segment_fixed_size: 0
    .kernarg_segment_align: 8
    .kernarg_segment_size: 88
    .language:       OpenCL C
    .language_version:
      - 2
      - 0
    .max_flat_workgroup_size: 51
    .name:           fft_rtc_fwd_len714_factors_3_17_7_2_wgs_51_tpt_51_halfLds_half_ip_CI_sbrr_dirReg
    .private_segment_fixed_size: 0
    .sgpr_count:     25
    .sgpr_spill_count: 0
    .symbol:         fft_rtc_fwd_len714_factors_3_17_7_2_wgs_51_tpt_51_halfLds_half_ip_CI_sbrr_dirReg.kd
    .uniform_work_group_size: 1
    .uses_dynamic_stack: false
    .vgpr_count:     95
    .vgpr_spill_count: 0
    .wavefront_size: 32
    .workgroup_processor_mode: 1
amdhsa.target:   amdgcn-amd-amdhsa--gfx1030
amdhsa.version:
  - 1
  - 2
...

	.end_amdgpu_metadata
